;; amdgpu-corpus repo=ROCm/rocFFT kind=compiled arch=gfx906 opt=O3
	.text
	.amdgcn_target "amdgcn-amd-amdhsa--gfx906"
	.amdhsa_code_object_version 6
	.protected	fft_rtc_back_len4050_factors_10_5_3_3_3_3_wgs_135_tpt_135_halfLds_dp_ip_CI_unitstride_sbrr_dirReg ; -- Begin function fft_rtc_back_len4050_factors_10_5_3_3_3_3_wgs_135_tpt_135_halfLds_dp_ip_CI_unitstride_sbrr_dirReg
	.globl	fft_rtc_back_len4050_factors_10_5_3_3_3_3_wgs_135_tpt_135_halfLds_dp_ip_CI_unitstride_sbrr_dirReg
	.p2align	8
	.type	fft_rtc_back_len4050_factors_10_5_3_3_3_3_wgs_135_tpt_135_halfLds_dp_ip_CI_unitstride_sbrr_dirReg,@function
fft_rtc_back_len4050_factors_10_5_3_3_3_3_wgs_135_tpt_135_halfLds_dp_ip_CI_unitstride_sbrr_dirReg: ; @fft_rtc_back_len4050_factors_10_5_3_3_3_3_wgs_135_tpt_135_halfLds_dp_ip_CI_unitstride_sbrr_dirReg
; %bb.0:
	s_load_dwordx2 s[2:3], s[4:5], 0x50
	s_load_dwordx4 s[8:11], s[4:5], 0x0
	s_load_dwordx2 s[12:13], s[4:5], 0x18
	v_mul_u32_u24_e32 v1, 0x1e6, v0
	v_add_u32_sdwa v5, s6, v1 dst_sel:DWORD dst_unused:UNUSED_PAD src0_sel:DWORD src1_sel:WORD_1
	v_mov_b32_e32 v3, 0
	s_waitcnt lgkmcnt(0)
	v_cmp_lt_u64_e64 s[0:1], s[10:11], 2
	v_mov_b32_e32 v1, 0
	v_mov_b32_e32 v6, v3
	s_and_b64 vcc, exec, s[0:1]
	v_mov_b32_e32 v2, 0
	s_cbranch_vccnz .LBB0_8
; %bb.1:
	s_load_dwordx2 s[0:1], s[4:5], 0x10
	s_add_u32 s6, s12, 8
	s_addc_u32 s7, s13, 0
	v_mov_b32_e32 v1, 0
	v_mov_b32_e32 v2, 0
	s_waitcnt lgkmcnt(0)
	s_add_u32 s14, s0, 8
	s_addc_u32 s15, s1, 0
	s_mov_b64 s[16:17], 1
.LBB0_2:                                ; =>This Inner Loop Header: Depth=1
	s_load_dwordx2 s[18:19], s[14:15], 0x0
                                        ; implicit-def: $vgpr7_vgpr8
	s_waitcnt lgkmcnt(0)
	v_or_b32_e32 v4, s19, v6
	v_cmp_ne_u64_e32 vcc, 0, v[3:4]
	s_and_saveexec_b64 s[0:1], vcc
	s_xor_b64 s[20:21], exec, s[0:1]
	s_cbranch_execz .LBB0_4
; %bb.3:                                ;   in Loop: Header=BB0_2 Depth=1
	v_cvt_f32_u32_e32 v4, s18
	v_cvt_f32_u32_e32 v7, s19
	s_sub_u32 s0, 0, s18
	s_subb_u32 s1, 0, s19
	v_mac_f32_e32 v4, 0x4f800000, v7
	v_rcp_f32_e32 v4, v4
	v_mul_f32_e32 v4, 0x5f7ffffc, v4
	v_mul_f32_e32 v7, 0x2f800000, v4
	v_trunc_f32_e32 v7, v7
	v_mac_f32_e32 v4, 0xcf800000, v7
	v_cvt_u32_f32_e32 v7, v7
	v_cvt_u32_f32_e32 v4, v4
	v_mul_lo_u32 v8, s0, v7
	v_mul_hi_u32 v9, s0, v4
	v_mul_lo_u32 v11, s1, v4
	v_mul_lo_u32 v10, s0, v4
	v_add_u32_e32 v8, v9, v8
	v_add_u32_e32 v8, v8, v11
	v_mul_hi_u32 v9, v4, v10
	v_mul_lo_u32 v11, v4, v8
	v_mul_hi_u32 v13, v4, v8
	v_mul_hi_u32 v12, v7, v10
	v_mul_lo_u32 v10, v7, v10
	v_mul_hi_u32 v14, v7, v8
	v_add_co_u32_e32 v9, vcc, v9, v11
	v_addc_co_u32_e32 v11, vcc, 0, v13, vcc
	v_mul_lo_u32 v8, v7, v8
	v_add_co_u32_e32 v9, vcc, v9, v10
	v_addc_co_u32_e32 v9, vcc, v11, v12, vcc
	v_addc_co_u32_e32 v10, vcc, 0, v14, vcc
	v_add_co_u32_e32 v8, vcc, v9, v8
	v_addc_co_u32_e32 v9, vcc, 0, v10, vcc
	v_add_co_u32_e32 v4, vcc, v4, v8
	v_addc_co_u32_e32 v7, vcc, v7, v9, vcc
	v_mul_lo_u32 v8, s0, v7
	v_mul_hi_u32 v9, s0, v4
	v_mul_lo_u32 v10, s1, v4
	v_mul_lo_u32 v11, s0, v4
	v_add_u32_e32 v8, v9, v8
	v_add_u32_e32 v8, v8, v10
	v_mul_lo_u32 v12, v4, v8
	v_mul_hi_u32 v13, v4, v11
	v_mul_hi_u32 v14, v4, v8
	;; [unrolled: 1-line block ×3, first 2 shown]
	v_mul_lo_u32 v11, v7, v11
	v_mul_hi_u32 v9, v7, v8
	v_add_co_u32_e32 v12, vcc, v13, v12
	v_addc_co_u32_e32 v13, vcc, 0, v14, vcc
	v_mul_lo_u32 v8, v7, v8
	v_add_co_u32_e32 v11, vcc, v12, v11
	v_addc_co_u32_e32 v10, vcc, v13, v10, vcc
	v_addc_co_u32_e32 v9, vcc, 0, v9, vcc
	v_add_co_u32_e32 v8, vcc, v10, v8
	v_addc_co_u32_e32 v9, vcc, 0, v9, vcc
	v_add_co_u32_e32 v4, vcc, v4, v8
	v_addc_co_u32_e32 v9, vcc, v7, v9, vcc
	v_mad_u64_u32 v[7:8], s[0:1], v5, v9, 0
	v_mul_hi_u32 v10, v5, v4
	v_add_co_u32_e32 v11, vcc, v10, v7
	v_addc_co_u32_e32 v12, vcc, 0, v8, vcc
	v_mad_u64_u32 v[7:8], s[0:1], v6, v4, 0
	v_mad_u64_u32 v[9:10], s[0:1], v6, v9, 0
	v_add_co_u32_e32 v4, vcc, v11, v7
	v_addc_co_u32_e32 v4, vcc, v12, v8, vcc
	v_addc_co_u32_e32 v7, vcc, 0, v10, vcc
	v_add_co_u32_e32 v4, vcc, v4, v9
	v_addc_co_u32_e32 v9, vcc, 0, v7, vcc
	v_mul_lo_u32 v10, s19, v4
	v_mul_lo_u32 v11, s18, v9
	v_mad_u64_u32 v[7:8], s[0:1], s18, v4, 0
	v_add3_u32 v8, v8, v11, v10
	v_sub_u32_e32 v10, v6, v8
	v_mov_b32_e32 v11, s19
	v_sub_co_u32_e32 v7, vcc, v5, v7
	v_subb_co_u32_e64 v10, s[0:1], v10, v11, vcc
	v_subrev_co_u32_e64 v11, s[0:1], s18, v7
	v_subbrev_co_u32_e64 v10, s[0:1], 0, v10, s[0:1]
	v_cmp_le_u32_e64 s[0:1], s19, v10
	v_cndmask_b32_e64 v12, 0, -1, s[0:1]
	v_cmp_le_u32_e64 s[0:1], s18, v11
	v_cndmask_b32_e64 v11, 0, -1, s[0:1]
	v_cmp_eq_u32_e64 s[0:1], s19, v10
	v_cndmask_b32_e64 v10, v12, v11, s[0:1]
	v_add_co_u32_e64 v11, s[0:1], 2, v4
	v_addc_co_u32_e64 v12, s[0:1], 0, v9, s[0:1]
	v_add_co_u32_e64 v13, s[0:1], 1, v4
	v_addc_co_u32_e64 v14, s[0:1], 0, v9, s[0:1]
	v_subb_co_u32_e32 v8, vcc, v6, v8, vcc
	v_cmp_ne_u32_e64 s[0:1], 0, v10
	v_cmp_le_u32_e32 vcc, s19, v8
	v_cndmask_b32_e64 v10, v14, v12, s[0:1]
	v_cndmask_b32_e64 v12, 0, -1, vcc
	v_cmp_le_u32_e32 vcc, s18, v7
	v_cndmask_b32_e64 v7, 0, -1, vcc
	v_cmp_eq_u32_e32 vcc, s19, v8
	v_cndmask_b32_e32 v7, v12, v7, vcc
	v_cmp_ne_u32_e32 vcc, 0, v7
	v_cndmask_b32_e64 v7, v13, v11, s[0:1]
	v_cndmask_b32_e32 v8, v9, v10, vcc
	v_cndmask_b32_e32 v7, v4, v7, vcc
.LBB0_4:                                ;   in Loop: Header=BB0_2 Depth=1
	s_andn2_saveexec_b64 s[0:1], s[20:21]
	s_cbranch_execz .LBB0_6
; %bb.5:                                ;   in Loop: Header=BB0_2 Depth=1
	v_cvt_f32_u32_e32 v4, s18
	s_sub_i32 s20, 0, s18
	v_rcp_iflag_f32_e32 v4, v4
	v_mul_f32_e32 v4, 0x4f7ffffe, v4
	v_cvt_u32_f32_e32 v4, v4
	v_mul_lo_u32 v7, s20, v4
	v_mul_hi_u32 v7, v4, v7
	v_add_u32_e32 v4, v4, v7
	v_mul_hi_u32 v4, v5, v4
	v_mul_lo_u32 v7, v4, s18
	v_add_u32_e32 v8, 1, v4
	v_sub_u32_e32 v7, v5, v7
	v_subrev_u32_e32 v9, s18, v7
	v_cmp_le_u32_e32 vcc, s18, v7
	v_cndmask_b32_e32 v7, v7, v9, vcc
	v_cndmask_b32_e32 v4, v4, v8, vcc
	v_add_u32_e32 v8, 1, v4
	v_cmp_le_u32_e32 vcc, s18, v7
	v_cndmask_b32_e32 v7, v4, v8, vcc
	v_mov_b32_e32 v8, v3
.LBB0_6:                                ;   in Loop: Header=BB0_2 Depth=1
	s_or_b64 exec, exec, s[0:1]
	v_mul_lo_u32 v4, v8, s18
	v_mul_lo_u32 v11, v7, s19
	v_mad_u64_u32 v[9:10], s[0:1], v7, s18, 0
	s_load_dwordx2 s[0:1], s[6:7], 0x0
	s_add_u32 s16, s16, 1
	v_add3_u32 v4, v10, v11, v4
	v_sub_co_u32_e32 v5, vcc, v5, v9
	v_subb_co_u32_e32 v4, vcc, v6, v4, vcc
	s_waitcnt lgkmcnt(0)
	v_mul_lo_u32 v4, s0, v4
	v_mul_lo_u32 v6, s1, v5
	v_mad_u64_u32 v[1:2], s[0:1], s0, v5, v[1:2]
	s_addc_u32 s17, s17, 0
	s_add_u32 s6, s6, 8
	v_add3_u32 v2, v6, v2, v4
	v_mov_b32_e32 v4, s10
	v_mov_b32_e32 v5, s11
	s_addc_u32 s7, s7, 0
	v_cmp_ge_u64_e32 vcc, s[16:17], v[4:5]
	s_add_u32 s14, s14, 8
	s_addc_u32 s15, s15, 0
	s_cbranch_vccnz .LBB0_9
; %bb.7:                                ;   in Loop: Header=BB0_2 Depth=1
	v_mov_b32_e32 v5, v7
	v_mov_b32_e32 v6, v8
	s_branch .LBB0_2
.LBB0_8:
	v_mov_b32_e32 v8, v6
	v_mov_b32_e32 v7, v5
.LBB0_9:
	s_lshl_b64 s[0:1], s[10:11], 3
	s_add_u32 s0, s12, s0
	s_addc_u32 s1, s13, s1
	s_load_dwordx2 s[6:7], s[0:1], 0x0
	s_load_dwordx2 s[10:11], s[4:5], 0x20
                                        ; implicit-def: $vgpr18_vgpr19
                                        ; implicit-def: $vgpr26_vgpr27
                                        ; implicit-def: $vgpr14_vgpr15
                                        ; implicit-def: $vgpr38_vgpr39
                                        ; implicit-def: $vgpr10_vgpr11
                                        ; implicit-def: $vgpr34_vgpr35
                                        ; implicit-def: $vgpr30_vgpr31
                                        ; implicit-def: $vgpr22_vgpr23
                                        ; implicit-def: $vgpr94_vgpr95
                                        ; implicit-def: $vgpr114_vgpr115
                                        ; implicit-def: $vgpr110_vgpr111
                                        ; implicit-def: $vgpr118_vgpr119
                                        ; implicit-def: $vgpr106_vgpr107
                                        ; implicit-def: $vgpr58_vgpr59
                                        ; implicit-def: $vgpr102_vgpr103
                                        ; implicit-def: $vgpr46_vgpr47
                                        ; implicit-def: $vgpr98_vgpr99
                                        ; implicit-def: $vgpr42_vgpr43
                                        ; implicit-def: $vgpr74_vgpr75
                                        ; implicit-def: $vgpr86_vgpr87
                                        ; implicit-def: $vgpr78_vgpr79
                                        ; implicit-def: $vgpr90_vgpr91
                                        ; implicit-def: $vgpr82_vgpr83
                                        ; implicit-def: $vgpr62_vgpr63
                                        ; implicit-def: $vgpr70_vgpr71
                                        ; implicit-def: $vgpr54_vgpr55
                                        ; implicit-def: $vgpr66_vgpr67
                                        ; implicit-def: $vgpr50_vgpr51
	s_waitcnt lgkmcnt(0)
	v_mad_u64_u32 v[1:2], s[0:1], s6, v7, v[1:2]
	v_mul_lo_u32 v3, s6, v8
	v_mul_lo_u32 v4, s7, v7
	s_mov_b32 s0, 0x1e573ad
	v_mul_hi_u32 v5, v0, s0
	v_cmp_gt_u64_e64 s[0:1], s[10:11], v[7:8]
	v_add3_u32 v2, v4, v2, v3
	v_lshlrev_b64 v[122:123], 4, v[1:2]
	v_mul_u32_u24_e32 v3, 0x87, v5
	v_sub_u32_e32 v120, v0, v3
                                        ; implicit-def: $vgpr6_vgpr7
                                        ; implicit-def: $vgpr2_vgpr3
	s_and_saveexec_b64 s[4:5], s[0:1]
	s_cbranch_execz .LBB0_11
; %bb.10:
	v_mov_b32_e32 v121, 0
	v_mov_b32_e32 v0, s3
	v_add_co_u32_e32 v2, vcc, s2, v122
	v_addc_co_u32_e32 v3, vcc, v0, v123, vcc
	v_lshlrev_b64 v[0:1], 4, v[120:121]
	s_movk_i32 s6, 0x1000
	v_add_co_u32_e32 v0, vcc, v2, v0
	v_addc_co_u32_e32 v1, vcc, v3, v1, vcc
	v_add_co_u32_e32 v12, vcc, s6, v0
	v_addc_co_u32_e32 v13, vcc, 0, v1, vcc
	s_movk_i32 s6, 0x3000
	v_add_co_u32_e32 v2, vcc, s6, v0
	v_addc_co_u32_e32 v3, vcc, 0, v1, vcc
	s_movk_i32 s6, 0x4000
	;; [unrolled: 3-line block ×4, first 2 shown]
	v_add_co_u32_e32 v16, vcc, s6, v0
	v_addc_co_u32_e32 v17, vcc, 0, v1, vcc
	s_mov_b32 s6, 0x9000
	v_add_co_u32_e32 v18, vcc, s6, v0
	v_addc_co_u32_e32 v19, vcc, 0, v1, vcc
	s_mov_b32 s6, 0xb000
	;; [unrolled: 3-line block ×4, first 2 shown]
	v_add_co_u32_e32 v124, vcc, s6, v0
	v_addc_co_u32_e32 v125, vcc, 0, v1, vcc
	s_movk_i32 s6, 0x2000
	v_add_co_u32_e32 v36, vcc, s6, v0
	v_addc_co_u32_e32 v37, vcc, 0, v1, vcc
	s_movk_i32 s6, 0x5000
	v_add_co_u32_e32 v38, vcc, s6, v0
	v_addc_co_u32_e32 v39, vcc, 0, v1, vcc
	s_mov_b32 s6, 0x8000
	v_add_co_u32_e32 v72, vcc, s6, v0
	v_addc_co_u32_e32 v73, vcc, 0, v1, vcc
	s_mov_b32 s6, 0xa000
	v_add_co_u32_e32 v126, vcc, s6, v0
	v_addc_co_u32_e32 v127, vcc, 0, v1, vcc
	s_mov_b32 s6, 0xd000
	v_add_co_u32_e32 v128, vcc, s6, v0
	v_addc_co_u32_e32 v129, vcc, 0, v1, vcc
	v_add_co_u32_e32 v130, vcc, 0xf000, v0
	global_load_dwordx4 v[48:51], v[0:1], off
	global_load_dwordx4 v[40:43], v[0:1], off offset:2160
	global_load_dwordx4 v[52:55], v[2:3], off offset:672
	;; [unrolled: 1-line block ×5, first 2 shown]
	v_addc_co_u32_e32 v131, vcc, 0, v1, vcc
	global_load_dwordx4 v[64:67], v[12:13], off offset:2384
	global_load_dwordx4 v[20:23], v[12:13], off offset:224
	;; [unrolled: 1-line block ×15, first 2 shown]
                                        ; kill: killed $vgpr36 killed $vgpr37
                                        ; kill: killed $vgpr18 killed $vgpr19
                                        ; kill: killed $vgpr16 killed $vgpr17
                                        ; kill: killed $vgpr14 killed $vgpr15
                                        ; kill: killed $vgpr72 killed $vgpr73
                                        ; kill: killed $vgpr38 killed $vgpr39
                                        ; kill: killed $vgpr12 killed $vgpr13
	global_load_dwordx4 v[76:79], v[24:25], off offset:304
	s_nop 0
	global_load_dwordx4 v[72:75], v[124:125], off offset:976
	global_load_dwordx4 v[84:87], v[26:27], off offset:2688
	;; [unrolled: 1-line block ×6, first 2 shown]
                                        ; kill: killed $vgpr124 killed $vgpr125
                                        ; kill: killed $vgpr26 killed $vgpr27
                                        ; kill: killed $vgpr24 killed $vgpr25
                                        ; kill: killed $vgpr126 killed $vgpr127
	s_nop 0
	global_load_dwordx4 v[24:27], v[128:129], off offset:2912
	global_load_dwordx4 v[16:19], v[130:131], off offset:1200
.LBB0_11:
	s_or_b64 exec, exec, s[4:5]
	s_waitcnt vmcnt(27)
	v_add_f64 v[124:125], v[52:53], v[48:49]
	v_add_f64 v[126:127], v[54:55], v[50:51]
	s_waitcnt vmcnt(9)
	v_add_f64 v[128:129], v[88:89], v[60:61]
	v_add_f64 v[132:133], v[52:53], -v[60:61]
	v_add_f64 v[134:135], v[60:61], -v[52:53]
	;; [unrolled: 1-line block ×4, first 2 shown]
	v_add_f64 v[136:137], v[90:91], v[62:63]
	v_add_f64 v[60:61], v[60:61], v[124:125]
	;; [unrolled: 1-line block ×3, first 2 shown]
	v_add_f64 v[126:127], v[54:55], -v[62:63]
	v_add_f64 v[62:63], v[62:63], -v[54:55]
	s_waitcnt vmcnt(6)
	v_add_f64 v[140:141], v[54:55], -v[86:87]
	v_add_f64 v[54:55], v[86:87], v[54:55]
	v_add_f64 v[146:147], v[86:87], -v[90:91]
	v_add_f64 v[148:149], v[90:91], -v[86:87]
	v_add_f64 v[60:61], v[88:89], v[60:61]
	v_add_f64 v[124:125], v[90:91], v[124:125]
	;; [unrolled: 1-line block ×4, first 2 shown]
	v_add_f64 v[52:53], v[52:53], -v[84:85]
	v_add_f64 v[144:145], v[84:85], -v[88:89]
	;; [unrolled: 1-line block ×3, first 2 shown]
	v_add_f64 v[150:151], v[70:71], v[66:67]
	v_add_f64 v[60:61], v[84:85], v[60:61]
	v_fma_f64 v[84:85], v[128:129], -0.5, v[48:49]
	v_fma_f64 v[128:129], v[136:137], -0.5, v[50:51]
	;; [unrolled: 1-line block ×3, first 2 shown]
	v_add_f64 v[54:55], v[80:81], v[90:91]
	v_add_f64 v[124:125], v[86:87], v[124:125]
	;; [unrolled: 1-line block ×4, first 2 shown]
	v_fma_f64 v[48:49], v[142:143], -0.5, v[48:49]
	v_add_f64 v[136:137], v[82:83], -v[78:79]
	v_add_f64 v[142:143], v[68:69], -v[80:81]
	;; [unrolled: 1-line block ×3, first 2 shown]
	v_add_f64 v[54:55], v[76:77], v[54:55]
	v_add_f64 v[152:153], v[78:79], v[82:83]
	v_add_f64 v[80:81], v[80:81], -v[76:77]
	v_add_f64 v[154:155], v[70:71], -v[82:83]
	;; [unrolled: 1-line block ×4, first 2 shown]
	v_add_f64 v[158:159], v[72:73], v[68:69]
	v_add_f64 v[86:87], v[78:79], v[86:87]
	v_add_f64 v[68:69], v[68:69], -v[72:73]
	v_add_f64 v[70:71], v[74:75], v[70:71]
	v_add_f64 v[160:161], v[72:73], -v[76:77]
	v_add_f64 v[76:77], v[76:77], -v[72:73]
	v_add_f64 v[54:55], v[72:73], v[54:55]
	v_fma_f64 v[72:73], v[90:91], -0.5, v[64:65]
	s_mov_b32 s4, 0x134454ff
	s_mov_b32 s5, 0xbfee6f0e
	;; [unrolled: 1-line block ×4, first 2 shown]
	v_add_f64 v[162:163], v[74:75], -v[78:79]
	v_add_f64 v[78:79], v[78:79], -v[74:75]
	v_add_f64 v[164:165], v[74:75], v[86:87]
	v_fma_f64 v[64:65], v[158:159], -0.5, v[64:65]
	v_fma_f64 v[74:75], v[152:153], -0.5, v[66:67]
	;; [unrolled: 1-line block ×3, first 2 shown]
	v_add_f64 v[70:71], v[144:145], v[132:133]
	v_fma_f64 v[90:91], v[130:131], s[10:11], v[48:49]
	v_fma_f64 v[48:49], v[130:131], s[4:5], v[48:49]
	;; [unrolled: 1-line block ×4, first 2 shown]
	s_mov_b32 s6, 0x4755a5e
	s_mov_b32 s7, 0xbfe2cf23
	;; [unrolled: 1-line block ×4, first 2 shown]
	v_fma_f64 v[86:87], v[140:141], s[4:5], v[84:85]
	v_fma_f64 v[84:85], v[140:141], s[10:11], v[84:85]
	v_add_f64 v[88:89], v[88:89], v[134:135]
	v_fma_f64 v[90:91], v[140:141], s[6:7], v[90:91]
	v_fma_f64 v[48:49], v[140:141], s[12:13], v[48:49]
	;; [unrolled: 1-line block ×10, first 2 shown]
	v_add_f64 v[130:131], v[160:161], v[142:143]
	v_fma_f64 v[66:67], v[80:81], s[10:11], v[66:67]
	v_add_f64 v[142:143], v[162:163], v[154:155]
	v_fma_f64 v[74:75], v[68:69], s[4:5], v[74:75]
	v_fma_f64 v[136:137], v[80:81], s[12:13], v[136:137]
	v_add_f64 v[78:79], v[78:79], v[82:83]
	v_fma_f64 v[82:83], v[68:69], s[12:13], v[140:141]
	s_mov_b32 s14, 0x372fe950
	s_mov_b32 s15, 0x3fd3c6ef
	v_fma_f64 v[66:67], v[68:69], s[6:7], v[66:67]
	v_add_f64 v[68:69], v[76:77], v[150:151]
	v_fma_f64 v[76:77], v[156:157], s[6:7], v[134:135]
	v_fma_f64 v[74:75], v[80:81], s[6:7], v[74:75]
	;; [unrolled: 1-line block ×11, first 2 shown]
	v_mul_f64 v[76:77], v[136:137], s[4:5]
	v_fma_f64 v[132:133], v[130:131], s[14:15], v[132:133]
	v_mul_f64 v[66:67], v[134:135], s[6:7]
	v_fma_f64 v[72:73], v[130:131], s[14:15], v[72:73]
	v_fma_f64 v[68:69], v[68:69], s[14:15], v[64:65]
	v_mul_f64 v[64:65], v[140:141], s[4:5]
	v_mul_f64 v[78:79], v[74:75], s[6:7]
	s_mov_b32 s16, 0x9b97f4a8
	v_fma_f64 v[82:83], v[144:145], s[14:15], v[76:77]
	s_mov_b32 s17, 0x3fe9e377
	s_mov_b32 s19, 0xbfd3c6ef
	;; [unrolled: 1-line block ×5, first 2 shown]
	v_fma_f64 v[48:49], v[88:89], s[14:15], v[48:49]
	v_fma_f64 v[80:81], v[132:133], s[16:17], v[66:67]
	;; [unrolled: 1-line block ×4, first 2 shown]
	v_add_f64 v[64:65], v[54:55], v[60:61]
	v_add_f64 v[78:79], v[84:85], -v[82:83]
	v_add_f64 v[88:89], v[84:85], v[82:83]
	v_add_f64 v[82:83], v[60:61], -v[54:55]
	v_fma_f64 v[54:55], v[52:53], s[10:11], v[128:129]
	v_add_f64 v[66:67], v[86:87], v[80:81]
	v_add_f64 v[76:77], v[86:87], -v[80:81]
	v_add_f64 v[90:91], v[48:49], v[130:131]
	v_add_f64 v[80:81], v[70:71], v[142:143]
	v_add_f64 v[84:85], v[48:49], -v[130:131]
	v_fma_f64 v[48:49], v[138:139], s[4:5], v[50:51]
	v_add_f64 v[86:87], v[70:71], -v[142:143]
	v_add_f64 v[70:71], v[146:147], v[126:127]
	v_fma_f64 v[54:55], v[138:139], s[12:13], v[54:55]
	v_mul_f64 v[126:127], v[132:133], s[12:13]
	v_fma_f64 v[60:61], v[52:53], s[4:5], v[128:129]
	v_fma_f64 v[50:51], v[138:139], s[10:11], v[50:51]
	v_add_f64 v[62:63], v[148:149], v[62:63]
	v_fma_f64 v[48:49], v[52:53], s[12:13], v[48:49]
	v_mul_f64 v[128:129], v[144:145], s[10:11]
	v_mul_f64 v[74:75], v[74:75], s[20:21]
	v_fma_f64 v[130:131], v[70:71], s[14:15], v[54:55]
	v_fma_f64 v[126:127], v[134:135], s[16:17], v[126:127]
	;; [unrolled: 1-line block ×4, first 2 shown]
	v_mul_f64 v[52:53], v[140:141], s[18:19]
	v_fma_f64 v[132:133], v[62:63], s[14:15], v[48:49]
	v_fma_f64 v[128:129], v[136:137], s[14:15], v[128:129]
	;; [unrolled: 1-line block ×3, first 2 shown]
	v_add_f64 v[138:139], v[56:57], -v[116:117]
	v_add_f64 v[54:55], v[130:131], v[126:127]
	v_add_f64 v[48:49], v[130:131], -v[126:127]
	v_add_f64 v[126:127], v[44:45], v[40:41]
	v_add_f64 v[130:131], v[46:47], v[42:43]
	v_fma_f64 v[134:135], v[70:71], s[14:15], v[60:61]
	v_fma_f64 v[60:61], v[62:63], s[14:15], v[50:51]
	;; [unrolled: 1-line block ×3, first 2 shown]
	v_add_f64 v[52:53], v[164:165], v[124:125]
	v_add_f64 v[70:71], v[124:125], -v[164:165]
	v_add_f64 v[50:51], v[132:133], -v[128:129]
	v_add_f64 v[124:125], v[56:57], v[126:127]
	v_add_f64 v[126:127], v[58:59], v[130:131]
	;; [unrolled: 1-line block ×5, first 2 shown]
	v_add_f64 v[60:61], v[60:61], -v[62:63]
	v_add_f64 v[62:63], v[134:135], -v[136:137]
	v_add_f64 v[128:129], v[116:117], v[56:57]
	v_add_f64 v[130:131], v[58:59], -v[118:119]
	v_add_f64 v[132:133], v[44:45], -v[56:57]
	;; [unrolled: 1-line block ×3, first 2 shown]
	v_add_f64 v[136:137], v[118:119], v[58:59]
	v_add_f64 v[140:141], v[46:47], -v[58:59]
	v_add_f64 v[142:143], v[58:59], -v[46:47]
	s_waitcnt vmcnt(2)
	v_add_f64 v[56:57], v[46:47], -v[114:115]
	v_add_f64 v[58:59], v[112:113], v[44:45]
	v_add_f64 v[144:145], v[44:45], -v[112:113]
	v_add_f64 v[44:45], v[114:115], v[46:47]
	v_add_f64 v[46:47], v[116:117], v[124:125]
	;; [unrolled: 1-line block ×4, first 2 shown]
	v_add_f64 v[126:127], v[112:113], -v[116:117]
	v_add_f64 v[116:117], v[116:117], -v[112:113]
	;; [unrolled: 1-line block ×4, first 2 shown]
	v_add_f64 v[150:151], v[102:103], v[98:99]
	v_add_f64 v[112:113], v[112:113], v[46:47]
	;; [unrolled: 1-line block ×3, first 2 shown]
	v_fma_f64 v[46:47], v[128:129], -0.5, v[40:41]
	v_fma_f64 v[124:125], v[136:137], -0.5, v[42:43]
	;; [unrolled: 1-line block ×3, first 2 shown]
	v_add_f64 v[42:43], v[104:105], v[148:149]
	v_fma_f64 v[40:41], v[58:59], -0.5, v[40:41]
	v_add_f64 v[44:45], v[106:107], v[150:151]
	v_add_f64 v[58:59], v[108:109], v[104:105]
	v_add_f64 v[136:137], v[106:107], -v[110:111]
	v_add_f64 v[152:153], v[110:111], v[106:107]
	v_add_f64 v[154:155], v[102:103], -v[106:107]
	v_add_f64 v[106:107], v[106:107], -v[102:103]
	;; [unrolled: 1-line block ×3, first 2 shown]
	v_add_f64 v[158:159], v[92:93], v[100:101]
	v_add_f64 v[42:43], v[108:109], v[42:43]
	;; [unrolled: 1-line block ×3, first 2 shown]
	v_add_f64 v[148:149], v[100:101], -v[104:105]
	v_add_f64 v[150:151], v[104:105], -v[100:101]
	;; [unrolled: 1-line block ×3, first 2 shown]
	v_add_f64 v[44:45], v[110:111], v[44:45]
	v_add_f64 v[100:101], v[100:101], -v[92:93]
	v_add_f64 v[160:161], v[92:93], -v[108:109]
	v_add_f64 v[108:109], v[108:109], -v[92:93]
	v_add_f64 v[92:93], v[92:93], v[42:43]
	v_fma_f64 v[42:43], v[58:59], -0.5, v[96:97]
	v_fma_f64 v[58:59], v[158:159], -0.5, v[96:97]
	;; [unrolled: 1-line block ×4, first 2 shown]
	v_add_f64 v[162:163], v[94:95], -v[110:111]
	v_add_f64 v[110:111], v[110:111], -v[94:95]
	v_add_f64 v[164:165], v[94:95], v[44:45]
	v_fma_f64 v[44:45], v[56:57], s[4:5], v[46:47]
	v_fma_f64 v[46:47], v[56:57], s[10:11], v[46:47]
	;; [unrolled: 1-line block ×4, first 2 shown]
	v_add_f64 v[102:103], v[126:127], v[132:133]
	v_fma_f64 v[126:127], v[100:101], s[10:11], v[96:97]
	v_fma_f64 v[132:133], v[104:105], s[4:5], v[98:99]
	;; [unrolled: 1-line block ×6, first 2 shown]
	v_add_f64 v[116:117], v[116:117], v[134:135]
	v_fma_f64 v[94:95], v[56:57], s[6:7], v[94:95]
	v_fma_f64 v[40:41], v[56:57], s[12:13], v[40:41]
	v_add_f64 v[56:57], v[160:161], v[148:149]
	v_fma_f64 v[130:131], v[156:157], s[4:5], v[42:43]
	v_fma_f64 v[42:43], v[156:157], s[10:11], v[42:43]
	;; [unrolled: 1-line block ×3, first 2 shown]
	v_add_f64 v[148:149], v[162:163], v[154:155]
	v_fma_f64 v[126:127], v[104:105], s[12:13], v[126:127]
	v_add_f64 v[106:107], v[110:111], v[106:107]
	v_fma_f64 v[110:111], v[100:101], s[12:13], v[132:133]
	v_fma_f64 v[58:59], v[136:137], s[4:5], v[58:59]
	;; [unrolled: 1-line block ×5, first 2 shown]
	v_add_f64 v[104:105], v[108:109], v[150:151]
	v_fma_f64 v[108:109], v[148:149], s[14:15], v[126:127]
	v_fma_f64 v[126:127], v[156:157], s[6:7], v[134:135]
	;; [unrolled: 1-line block ×8, first 2 shown]
	v_mul_f64 v[100:101], v[108:109], s[6:7]
	v_fma_f64 v[126:127], v[104:105], s[14:15], v[126:127]
	v_mul_f64 v[106:107], v[110:111], s[4:5]
	v_fma_f64 v[132:133], v[104:105], s[14:15], v[58:59]
	;; [unrolled: 2-line block ×4, first 2 shown]
	v_fma_f64 v[56:57], v[130:131], s[16:17], v[100:101]
	v_fma_f64 v[94:95], v[116:117], s[14:15], v[94:95]
	;; [unrolled: 1-line block ×7, first 2 shown]
	v_add_f64 v[40:41], v[92:93], v[112:113]
	v_add_f64 v[42:43], v[44:45], v[56:57]
	v_add_f64 v[44:45], v[44:45], -v[56:57]
	v_add_f64 v[46:47], v[94:95], -v[100:101]
	v_add_f64 v[56:57], v[94:95], v[100:101]
	v_add_f64 v[58:59], v[104:105], v[106:107]
	v_add_f64 v[102:103], v[112:113], -v[92:93]
	v_fma_f64 v[92:93], v[144:145], s[10:11], v[124:125]
	v_add_f64 v[100:101], v[116:117], v[136:137]
	v_add_f64 v[104:105], v[104:105], -v[106:107]
	v_fma_f64 v[94:95], v[138:139], s[4:5], v[128:129]
	v_add_f64 v[106:107], v[116:117], -v[136:137]
	v_fma_f64 v[112:113], v[144:145], s[4:5], v[124:125]
	v_fma_f64 v[116:117], v[138:139], s[10:11], v[128:129]
	v_add_f64 v[124:125], v[146:147], v[140:141]
	v_fma_f64 v[92:93], v[138:139], s[12:13], v[92:93]
	v_add_f64 v[118:119], v[118:119], v[142:143]
	v_mul_f64 v[128:129], v[130:131], s[12:13]
	v_fma_f64 v[94:95], v[144:145], s[12:13], v[94:95]
	v_mul_f64 v[126:127], v[126:127], s[10:11]
	v_fma_f64 v[112:113], v[138:139], s[6:7], v[112:113]
	v_fma_f64 v[116:117], v[144:145], s[6:7], v[116:117]
	v_mul_f64 v[98:99], v[98:99], s[18:19]
	v_mul_f64 v[96:97], v[96:97], s[20:21]
	v_fma_f64 v[92:93], v[124:125], s[14:15], v[92:93]
	v_fma_f64 v[108:109], v[108:109], s[16:17], v[128:129]
	;; [unrolled: 1-line block ×8, first 2 shown]
	v_add_f64 v[130:131], v[28:29], v[20:21]
	v_add_f64 v[132:133], v[30:31], v[22:23]
	;; [unrolled: 1-line block ×3, first 2 shown]
	v_add_f64 v[92:93], v[92:93], -v[108:109]
	v_add_f64 v[94:95], v[128:129], -v[110:111]
	v_add_f64 v[108:109], v[128:129], v[110:111]
	v_add_f64 v[110:111], v[116:117], v[118:119]
	;; [unrolled: 1-line block ×3, first 2 shown]
	v_add_f64 v[116:117], v[116:117], -v[118:119]
	v_add_f64 v[118:119], v[124:125], -v[126:127]
	v_add_f64 v[124:125], v[32:33], v[130:131]
	v_add_f64 v[126:127], v[34:35], v[132:133]
	;; [unrolled: 1-line block ×3, first 2 shown]
	v_add_f64 v[130:131], v[34:35], -v[38:39]
	v_add_f64 v[136:137], v[38:39], v[34:35]
	v_add_f64 v[138:139], v[30:31], -v[34:35]
	v_add_f64 v[34:35], v[34:35], -v[30:31]
	s_waitcnt vmcnt(1)
	v_add_f64 v[140:141], v[30:31], -v[26:27]
	v_add_f64 v[30:31], v[26:27], v[30:31]
	v_add_f64 v[124:125], v[36:37], v[124:125]
	;; [unrolled: 1-line block ×5, first 2 shown]
	v_add_f64 v[132:133], v[28:29], -v[32:33]
	v_add_f64 v[134:135], v[32:33], -v[28:29]
	;; [unrolled: 1-line block ×3, first 2 shown]
	v_add_f64 v[142:143], v[24:25], v[28:29]
	v_add_f64 v[28:29], v[28:29], -v[24:25]
	v_add_f64 v[144:145], v[24:25], -v[36:37]
	;; [unrolled: 1-line block ×5, first 2 shown]
	v_add_f64 v[24:25], v[24:25], v[124:125]
	v_add_f64 v[26:27], v[26:27], v[126:127]
	v_fma_f64 v[124:125], v[128:129], -0.5, v[20:21]
	v_fma_f64 v[126:127], v[136:137], -0.5, v[22:23]
	;; [unrolled: 1-line block ×3, first 2 shown]
	v_add_f64 v[30:31], v[8:9], v[148:149]
	v_add_f64 v[128:129], v[10:11], v[150:151]
	v_fma_f64 v[20:21], v[142:143], -0.5, v[20:21]
	v_add_f64 v[136:137], v[12:13], v[8:9]
	v_add_f64 v[142:143], v[10:11], -v[14:15]
	v_add_f64 v[152:153], v[14:15], v[10:11]
	v_add_f64 v[154:155], v[6:7], -v[10:11]
	v_add_f64 v[10:11], v[10:11], -v[6:7]
	s_waitcnt vmcnt(0)
	v_add_f64 v[156:157], v[6:7], -v[18:19]
	v_add_f64 v[30:31], v[12:13], v[30:31]
	v_add_f64 v[128:129], v[14:15], v[128:129]
	;; [unrolled: 1-line block ×3, first 2 shown]
	v_add_f64 v[148:149], v[4:5], -v[8:9]
	v_add_f64 v[150:151], v[8:9], -v[4:5]
	;; [unrolled: 1-line block ×3, first 2 shown]
	v_add_f64 v[158:159], v[16:17], v[4:5]
	v_add_f64 v[4:5], v[4:5], -v[16:17]
	v_add_f64 v[160:161], v[16:17], -v[12:13]
	;; [unrolled: 1-line block ×5, first 2 shown]
	v_add_f64 v[16:17], v[16:17], v[30:31]
	v_add_f64 v[30:31], v[18:19], v[128:129]
	v_fma_f64 v[18:19], v[136:137], -0.5, v[0:1]
	v_fma_f64 v[128:129], v[140:141], s[4:5], v[124:125]
	v_fma_f64 v[124:125], v[140:141], s[10:11], v[124:125]
	;; [unrolled: 1-line block ×4, first 2 shown]
	v_fma_f64 v[152:153], v[152:153], -0.5, v[2:3]
	v_fma_f64 v[2:3], v[6:7], -0.5, v[2:3]
	v_fma_f64 v[0:1], v[158:159], -0.5, v[0:1]
	v_add_f64 v[36:37], v[36:37], v[134:135]
	v_fma_f64 v[128:129], v[130:131], s[6:7], v[128:129]
	v_fma_f64 v[124:125], v[130:131], s[12:13], v[124:125]
	;; [unrolled: 1-line block ×7, first 2 shown]
	v_add_f64 v[6:7], v[144:145], v[132:133]
	v_add_f64 v[132:133], v[160:161], v[148:149]
	v_fma_f64 v[148:149], v[4:5], s[4:5], v[152:153]
	v_fma_f64 v[136:137], v[156:157], s[4:5], v[18:19]
	;; [unrolled: 1-line block ×3, first 2 shown]
	v_add_f64 v[152:153], v[162:163], v[154:155]
	v_fma_f64 v[134:135], v[8:9], s[12:13], v[134:135]
	v_add_f64 v[10:11], v[14:15], v[10:11]
	v_fma_f64 v[0:1], v[142:143], s[4:5], v[0:1]
	v_fma_f64 v[2:3], v[4:5], s[6:7], v[2:3]
	;; [unrolled: 1-line block ×6, first 2 shown]
	v_add_f64 v[12:13], v[12:13], v[150:151]
	v_fma_f64 v[134:135], v[152:153], s[14:15], v[134:135]
	v_fma_f64 v[136:137], v[156:157], s[6:7], v[144:145]
	;; [unrolled: 1-line block ×8, first 2 shown]
	v_mul_f64 v[4:5], v[134:135], s[6:7]
	v_fma_f64 v[136:137], v[12:13], s[14:15], v[136:137]
	v_fma_f64 v[150:151], v[12:13], s[14:15], v[0:1]
	v_mul_f64 v[0:1], v[144:145], s[4:5]
	v_mul_f64 v[8:9], v[140:141], s[4:5]
	v_fma_f64 v[132:133], v[132:133], s[14:15], v[2:3]
	v_mul_f64 v[2:3], v[142:143], s[6:7]
	v_fma_f64 v[10:11], v[6:7], s[14:15], v[128:129]
	v_fma_f64 v[4:5], v[148:149], s[16:17], v[4:5]
	;; [unrolled: 1-line block ×8, first 2 shown]
	v_add_f64 v[0:1], v[16:17], v[24:25]
	v_add_f64 v[2:3], v[10:11], v[4:5]
	v_add_f64 v[4:5], v[10:11], -v[4:5]
	v_add_f64 v[14:15], v[24:25], -v[16:17]
	v_add_f64 v[10:11], v[18:19], v[20:21]
	v_add_f64 v[16:17], v[18:19], -v[20:21]
	v_fma_f64 v[20:21], v[32:33], s[4:5], v[22:23]
	v_add_f64 v[6:7], v[12:13], -v[8:9]
	v_add_f64 v[8:9], v[12:13], v[8:9]
	v_fma_f64 v[24:25], v[28:29], s[10:11], v[126:127]
	v_add_f64 v[12:13], v[36:37], v[124:125]
	v_add_f64 v[18:19], v[36:37], -v[124:125]
	v_fma_f64 v[22:23], v[32:33], s[10:11], v[22:23]
	v_fma_f64 v[124:125], v[28:29], s[4:5], v[126:127]
	v_add_f64 v[34:35], v[38:39], v[34:35]
	v_mul_f64 v[38:39], v[148:149], s[12:13]
	v_fma_f64 v[20:21], v[28:29], s[12:13], v[20:21]
	v_mul_f64 v[126:127], v[136:137], s[10:11]
	v_add_f64 v[36:37], v[146:147], v[138:139]
	v_fma_f64 v[24:25], v[32:33], s[12:13], v[24:25]
	v_fma_f64 v[22:23], v[28:29], s[6:7], v[22:23]
	v_mul_f64 v[28:29], v[144:145], s[18:19]
	v_fma_f64 v[32:33], v[32:33], s[6:7], v[124:125]
	v_mul_f64 v[124:125], v[142:143], s[20:21]
	v_fma_f64 v[38:39], v[134:135], s[16:17], v[38:39]
	v_fma_f64 v[20:21], v[34:35], s[14:15], v[20:21]
	;; [unrolled: 1-line block ×8, first 2 shown]
	v_add_f64 v[96:97], v[164:165], v[114:115]
	s_movk_i32 s16, 0xffb8
	v_add_f64 v[130:131], v[20:21], -v[134:135]
	v_add_f64 v[132:133], v[20:21], v[134:135]
	v_mul_u32_u24_e32 v20, 10, v120
	v_lshl_add_u32 v144, v20, 3, 0
	v_add_f64 v[114:115], v[114:115], -v[164:165]
	v_mad_i32_i24 v121, v120, s16, v144
	ds_write_b128 v144, v[64:67]
	ds_write_b128 v144, v[88:91] offset:16
	ds_write_b128 v144, v[80:83] offset:32
	;; [unrolled: 1-line block ×14, first 2 shown]
	v_add_u32_e32 v101, 0x1800, v121
	v_add_u32_e32 v163, 0x3000, v121
	;; [unrolled: 1-line block ×10, first 2 shown]
	s_movk_i32 s16, 0xcd
	v_add_f64 v[124:125], v[30:31], v[26:27]
	v_add_f64 v[126:127], v[24:25], v[38:39]
	v_add_f64 v[128:129], v[24:25], -v[38:39]
	v_add_f64 v[134:135], v[22:23], v[28:29]
	v_add_f64 v[138:139], v[26:27], -v[30:31]
	;; [unrolled: 2-line block ×3, first 2 shown]
	v_add_f64 v[142:143], v[32:33], -v[34:35]
	s_waitcnt lgkmcnt(0)
	s_barrier
	ds_read2_b64 v[8:11], v121 offset1:135
	ds_read2_b64 v[76:79], v101 offset0:42 offset1:177
	ds_read2_b64 v[64:67], v163 offset0:84 offset1:219
	;; [unrolled: 1-line block ×9, first 2 shown]
	v_add_u32_e32 v161, 0x2800, v121
	v_add_u32_e32 v170, 0x4000, v121
	;; [unrolled: 1-line block ×4, first 2 shown]
	ds_read2_b64 v[0:3], v165 offset0:28 offset1:163
	ds_read2_b64 v[28:31], v161 offset0:70 offset1:205
	;; [unrolled: 1-line block ×5, first 2 shown]
	s_waitcnt lgkmcnt(0)
	s_barrier
	ds_write_b128 v144, v[52:55]
	ds_write_b128 v144, v[72:75] offset:16
	ds_write_b128 v144, v[68:71] offset:32
	;; [unrolled: 1-line block ×5, first 2 shown]
	v_mul_lo_u16_sdwa v48, v120, s16 dst_sel:DWORD dst_unused:UNUSED_PAD src0_sel:BYTE_0 src1_sel:DWORD
	v_lshrrev_b16_e32 v60, 11, v48
	v_mul_lo_u16_e32 v48, 10, v60
	v_sub_u16_e32 v54, v120, v48
	v_mov_b32_e32 v48, 6
	v_add_u32_e32 v175, 0x87, v120
	v_lshlrev_b32_sdwa v48, v48, v54 dst_sel:DWORD dst_unused:UNUSED_PAD src0_sel:DWORD src1_sel:BYTE_0
	s_mov_b32 s16, 0xcccd
	ds_write_b128 v144, v[108:111] offset:10816
	ds_write_b128 v144, v[112:115] offset:10832
	;; [unrolled: 1-line block ×9, first 2 shown]
	s_waitcnt lgkmcnt(0)
	s_barrier
	v_mul_u32_u24_sdwa v49, v175, s16 dst_sel:DWORD dst_unused:UNUSED_PAD src0_sel:WORD_0 src1_sel:DWORD
	global_load_dwordx4 v[50:53], v48, s[8:9]
	v_lshrrev_b32_e32 v55, 19, v49
	v_mul_lo_u16_e32 v49, 10, v55
	v_sub_u16_e32 v176, v175, v49
	v_lshlrev_b32_e32 v49, 6, v176
	global_load_dwordx4 v[68:71], v49, s[8:9]
	global_load_dwordx4 v[72:75], v48, s[8:9] offset:16
	global_load_dwordx4 v[81:84], v49, s[8:9] offset:16
	;; [unrolled: 1-line block ×6, first 2 shown]
	v_add_u32_e32 v178, 0x10e, v120
	v_mul_u32_u24_sdwa v48, v178, s16 dst_sel:DWORD dst_unused:UNUSED_PAD src0_sel:WORD_0 src1_sel:DWORD
	v_lshrrev_b32_e32 v180, 19, v48
	v_mul_lo_u16_e32 v48, 10, v180
	v_add_u32_e32 v172, 0x195, v120
	v_sub_u16_e32 v177, v178, v48
	v_mul_u32_u24_sdwa v48, v172, s16 dst_sel:DWORD dst_unused:UNUSED_PAD src0_sel:WORD_0 src1_sel:DWORD
	v_lshrrev_b32_e32 v184, 19, v48
	v_mul_lo_u16_e32 v48, 10, v184
	v_sub_u16_e32 v183, v172, v48
	v_lshlrev_b32_e32 v61, 6, v177
	v_lshlrev_b32_e32 v63, 6, v183
	global_load_dwordx4 v[104:107], v61, s[8:9]
	global_load_dwordx4 v[142:145], v63, s[8:9]
	global_load_dwordx4 v[146:149], v61, s[8:9] offset:16
	ds_read2_b64 v[108:111], v101 offset0:42 offset1:177
	global_load_dwordx4 v[150:153], v63, s[8:9] offset:16
	global_load_dwordx4 v[154:157], v61, s[8:9] offset:32
	;; [unrolled: 1-line block ×4, first 2 shown]
	v_add_u32_e32 v173, 0x21c, v120
	global_load_dwordx4 v[195:198], v63, s[8:9] offset:48
	v_mul_u32_u24_sdwa v63, v173, s16 dst_sel:DWORD dst_unused:UNUSED_PAD src0_sel:WORD_0 src1_sel:DWORD
	v_lshrrev_b32_e32 v186, 19, v63
	v_mul_lo_u16_e32 v63, 10, v186
	v_add_u32_e32 v174, 0x2a3, v120
	v_sub_u16_e32 v185, v173, v63
	v_mul_u32_u24_sdwa v63, v174, s16 dst_sel:DWORD dst_unused:UNUSED_PAD src0_sel:WORD_0 src1_sel:DWORD
	ds_read2_b64 v[114:117], v163 offset0:84 offset1:219
	v_lshrrev_b32_e32 v181, 19, v63
	v_mul_lo_u16_e32 v63, 10, v181
	v_sub_u16_e32 v182, v174, v63
	v_lshlrev_b32_e32 v101, 6, v185
	v_lshlrev_b32_e32 v124, 6, v182
	global_load_dwordx4 v[199:202], v101, s[8:9]
	global_load_dwordx4 v[207:210], v101, s[8:9] offset:16
	global_load_dwordx4 v[203:206], v124, s[8:9]
	global_load_dwordx4 v[211:214], v124, s[8:9] offset:16
	global_load_dwordx4 v[215:218], v124, s[8:9] offset:32
	;; [unrolled: 1-line block ×4, first 2 shown]
	v_mov_b32_e32 v179, 3
	s_waitcnt vmcnt(21) lgkmcnt(1)
	v_mul_f64 v[61:62], v[110:111], v[70:71]
	v_mul_f64 v[48:49], v[108:109], v[52:53]
	;; [unrolled: 1-line block ×3, first 2 shown]
	s_waitcnt vmcnt(20) lgkmcnt(0)
	v_mul_f64 v[118:119], v[114:115], v[74:75]
	v_mul_f64 v[70:71], v[78:79], v[70:71]
	v_fma_f64 v[112:113], v[78:79], v[68:69], v[61:62]
	v_fma_f64 v[48:49], v[76:77], v[50:51], v[48:49]
	v_fma_f64 v[126:127], v[108:109], v[50:51], -v[52:53]
	v_mul_f64 v[52:53], v[64:65], v[74:75]
	v_fma_f64 v[50:51], v[64:65], v[72:73], v[118:119]
	global_load_dwordx4 v[61:64], v101, s[8:9] offset:32
	s_waitcnt vmcnt(20)
	v_mul_f64 v[76:77], v[116:117], v[83:84]
	v_fma_f64 v[102:103], v[110:111], v[68:69], -v[70:71]
	ds_read2_b64 v[68:71], v169 offset0:62 offset1:197
	v_fma_f64 v[134:135], v[114:115], v[72:73], -v[52:53]
	v_mul_f64 v[52:53], v[66:67], v[83:84]
	s_waitcnt vmcnt(19)
	v_mul_f64 v[83:84], v[56:57], v[87:88]
	v_fma_f64 v[128:129], v[66:67], v[81:82], v[76:77]
	s_waitcnt vmcnt(18) lgkmcnt(0)
	v_mul_f64 v[65:66], v[70:71], v[91:92]
	v_mul_f64 v[78:79], v[68:69], v[87:88]
	;; [unrolled: 1-line block ×3, first 2 shown]
	ds_read2_b64 v[72:75], v166 offset0:40 offset1:175
	v_fma_f64 v[116:117], v[116:117], v[81:82], -v[52:53]
	s_waitcnt vmcnt(17)
	v_mul_f64 v[81:82], v[44:45], v[95:96]
	v_fma_f64 v[138:139], v[68:69], v[85:86], -v[83:84]
	v_fma_f64 v[132:133], v[58:59], v[89:90], v[65:66]
	ds_read2_b64 v[65:68], v167 offset0:98 offset1:233
	v_fma_f64 v[52:53], v[56:57], v[85:86], v[78:79]
	ds_read2_b64 v[56:59], v80 offset0:56 offset1:191
	v_fma_f64 v[124:125], v[70:71], v[89:90], -v[76:77]
	s_waitcnt vmcnt(16) lgkmcnt(2)
	v_mul_f64 v[69:70], v[74:75], v[99:100]
	s_waitcnt vmcnt(13) lgkmcnt(1)
	v_mul_f64 v[84:85], v[65:66], v[148:149]
	v_fma_f64 v[140:141], v[72:73], v[93:94], -v[81:82]
	s_waitcnt lgkmcnt(0)
	v_mul_f64 v[76:77], v[56:57], v[106:107]
	v_mul_f64 v[78:79], v[40:41], v[106:107]
	;; [unrolled: 1-line block ×6, first 2 shown]
	v_fma_f64 v[136:137], v[46:47], v[97:98], v[69:70]
	v_mul_f64 v[46:47], v[36:37], v[148:149]
	v_fma_f64 v[110:111], v[36:37], v[146:147], v[84:85]
	s_waitcnt vmcnt(12)
	v_mul_f64 v[36:37], v[67:68], v[152:153]
	v_fma_f64 v[108:109], v[40:41], v[104:105], v[76:77]
	v_fma_f64 v[104:105], v[56:57], v[104:105], -v[78:79]
	v_fma_f64 v[82:83], v[58:59], v[142:143], -v[82:83]
	ds_read2_b64 v[56:59], v168 offset0:54 offset1:189
	v_fma_f64 v[44:45], v[44:45], v[93:94], v[87:88]
	v_fma_f64 v[88:89], v[42:43], v[142:143], v[80:81]
	ds_read2_b64 v[40:43], v160 offset0:12 offset1:147
	v_fma_f64 v[130:131], v[74:75], v[97:98], -v[71:72]
	s_waitcnt vmcnt(9) lgkmcnt(1)
	v_mul_f64 v[75:76], v[56:57], v[193:194]
	v_fma_f64 v[92:93], v[38:39], v[150:151], v[36:37]
	v_mul_f64 v[36:37], v[24:25], v[193:194]
	v_fma_f64 v[106:107], v[65:66], v[146:147], -v[46:47]
	s_waitcnt lgkmcnt(0)
	v_mul_f64 v[65:66], v[40:41], v[156:157]
	v_mul_f64 v[71:72], v[42:43], v[189:190]
	;; [unrolled: 1-line block ×5, first 2 shown]
	v_fma_f64 v[118:119], v[24:25], v[191:192], v[75:76]
	v_fma_f64 v[98:99], v[56:57], v[191:192], -v[36:37]
	s_waitcnt vmcnt(8)
	v_mul_f64 v[24:25], v[58:59], v[197:198]
	ds_read2_b64 v[36:39], v170 offset0:112 offset1:247
	v_fma_f64 v[114:115], v[32:33], v[154:155], v[65:66]
	v_fma_f64 v[94:95], v[34:35], v[187:188], v[71:72]
	ds_read2_b64 v[32:35], v161 offset0:70 offset1:205
	v_fma_f64 v[86:87], v[42:43], v[187:188], -v[73:74]
	s_waitcnt vmcnt(5)
	v_mul_f64 v[65:66], v[30:31], v[205:206]
	s_waitcnt lgkmcnt(1)
	v_mul_f64 v[72:73], v[36:37], v[209:210]
	v_fma_f64 v[100:101], v[40:41], v[154:155], -v[69:70]
	v_mul_f64 v[40:41], v[26:27], v[197:198]
	s_waitcnt lgkmcnt(0)
	v_mul_f64 v[42:43], v[32:33], v[201:202]
	v_mul_f64 v[56:57], v[34:35], v[205:206]
	v_fma_f64 v[96:97], v[26:27], v[195:196], v[24:25]
	ds_read2_b64 v[24:27], v164 offset0:26 offset1:161
	v_fma_f64 v[90:91], v[67:68], v[150:151], -v[46:47]
	v_mul_f64 v[46:47], v[28:29], v[201:202]
	v_mul_f64 v[76:77], v[20:21], v[209:210]
	v_fma_f64 v[68:69], v[34:35], v[203:204], -v[65:66]
	v_fma_f64 v[78:79], v[20:21], v[207:208], v[72:73]
	s_waitcnt vmcnt(4)
	v_mul_f64 v[20:21], v[38:39], v[213:214]
	v_fma_f64 v[80:81], v[28:29], v[199:200], v[42:43]
	v_fma_f64 v[70:71], v[30:31], v[203:204], v[56:57]
	ds_read2_b64 v[28:31], v171 offset0:68 offset1:203
	v_fma_f64 v[84:85], v[58:59], v[195:196], -v[40:41]
	v_fma_f64 v[74:75], v[32:33], v[199:200], -v[46:47]
	s_waitcnt vmcnt(0) lgkmcnt(1)
	v_mul_f64 v[34:35], v[24:25], v[63:64]
	v_fma_f64 v[76:77], v[36:37], v[207:208], -v[76:77]
	v_mul_f64 v[32:33], v[22:23], v[213:214]
	v_mul_f64 v[36:37], v[16:17], v[63:64]
	;; [unrolled: 1-line block ×4, first 2 shown]
	s_waitcnt lgkmcnt(0)
	v_mul_f64 v[46:47], v[28:29], v[221:222]
	v_fma_f64 v[72:73], v[22:23], v[211:212], v[20:21]
	v_add_f64 v[20:21], v[50:51], v[52:53]
	v_fma_f64 v[152:153], v[16:17], v[61:62], v[34:35]
	v_add_f64 v[34:35], v[48:49], v[44:45]
	v_fma_f64 v[144:145], v[38:39], v[211:212], -v[32:33]
	v_fma_f64 v[150:151], v[24:25], v[61:62], -v[36:37]
	v_fma_f64 v[146:147], v[18:19], v[215:216], v[40:41]
	v_fma_f64 v[142:143], v[26:27], v[215:216], -v[42:43]
	v_fma_f64 v[156:157], v[12:13], v[219:220], v[46:47]
	v_add_f64 v[16:17], v[8:9], v[48:49]
	v_fma_f64 v[18:19], v[20:21], -0.5, v[8:9]
	v_mul_f64 v[12:13], v[12:13], v[221:222]
	v_mul_f64 v[22:23], v[30:31], v[225:226]
	v_mul_f64 v[24:25], v[14:15], v[225:226]
	v_add_f64 v[26:27], v[48:49], -v[50:51]
	v_add_f64 v[32:33], v[44:45], -v[52:53]
	;; [unrolled: 1-line block ×3, first 2 shown]
	v_fma_f64 v[8:9], v[34:35], -0.5, v[8:9]
	v_add_f64 v[20:21], v[126:127], -v[140:141]
	v_fma_f64 v[158:159], v[28:29], v[219:220], -v[12:13]
	v_fma_f64 v[154:155], v[14:15], v[223:224], v[22:23]
	v_fma_f64 v[148:149], v[30:31], v[223:224], -v[24:25]
	v_add_f64 v[22:23], v[50:51], -v[48:49]
	v_add_f64 v[12:13], v[26:27], v[32:33]
	v_add_f64 v[24:25], v[52:53], -v[44:45]
	v_fma_f64 v[26:27], v[38:39], s[10:11], v[8:9]
	v_add_f64 v[16:17], v[16:17], v[50:51]
	v_fma_f64 v[36:37], v[20:21], s[4:5], v[18:19]
	v_fma_f64 v[8:9], v[38:39], s[4:5], v[8:9]
	;; [unrolled: 1-line block ×3, first 2 shown]
	v_mul_u32_u24_e32 v28, 0x190, v60
	v_lshlrev_b32_sdwa v29, v179, v54 dst_sel:DWORD dst_unused:UNUSED_PAD src0_sel:DWORD src1_sel:BYTE_0
	v_add_f64 v[22:23], v[22:23], v[24:25]
	v_fma_f64 v[24:25], v[20:21], s[6:7], v[26:27]
	v_add_f64 v[14:15], v[16:17], v[52:53]
	v_fma_f64 v[16:17], v[38:39], s[6:7], v[36:37]
	;; [unrolled: 2-line block ×3, first 2 shown]
	v_fma_f64 v[18:19], v[38:39], s[12:13], v[18:19]
	v_add3_u32 v202, 0, v28, v29
	v_add_f64 v[28:29], v[102:103], -v[130:131]
	v_fma_f64 v[20:21], v[22:23], s[14:15], v[24:25]
	v_add_f64 v[24:25], v[10:11], v[112:113]
	v_add_f64 v[14:15], v[14:15], v[44:45]
	v_fma_f64 v[16:17], v[12:13], s[14:15], v[16:17]
	v_fma_f64 v[26:27], v[26:27], -0.5, v[10:11]
	v_fma_f64 v[8:9], v[22:23], s[14:15], v[8:9]
	v_add_f64 v[22:23], v[112:113], v[136:137]
	v_fma_f64 v[12:13], v[12:13], s[14:15], v[18:19]
	ds_read2_b64 v[188:191], v121 offset1:135
	v_add_f64 v[18:19], v[24:25], v[128:129]
	ds_read2_b64 v[60:63], v162 offset0:14 offset1:149
	ds_read2_b64 v[56:59], v165 offset0:28 offset1:163
	s_waitcnt lgkmcnt(0)
	s_barrier
	v_add_f64 v[30:31], v[112:113], -v[128:129]
	v_add_f64 v[32:33], v[136:137], -v[132:133]
	ds_write2_b64 v202, v[14:15], v[16:17] offset1:10
	v_fma_f64 v[14:15], v[28:29], s[4:5], v[26:27]
	v_add_f64 v[16:17], v[116:117], -v[124:125]
	ds_write2_b64 v202, v[20:21], v[8:9] offset0:20 offset1:30
	v_fma_f64 v[8:9], v[22:23], -0.5, v[10:11]
	ds_write_b64 v202, v[12:13] offset:320
	v_add_f64 v[12:13], v[18:19], v[132:133]
	v_mul_u32_u24_e32 v22, 0x190, v55
	v_lshlrev_b32_e32 v23, 3, v176
	v_add_f64 v[18:19], v[128:129], -v[112:113]
	v_add_f64 v[20:21], v[132:133], -v[136:137]
	v_add3_u32 v187, 0, v22, v23
	v_add_f64 v[22:23], v[110:111], v[114:115]
	v_fma_f64 v[26:27], v[28:29], s[10:11], v[26:27]
	v_add_f64 v[10:11], v[30:31], v[32:33]
	v_fma_f64 v[14:15], v[16:17], s[6:7], v[14:15]
	v_fma_f64 v[24:25], v[16:17], s[10:11], v[8:9]
	v_fma_f64 v[8:9], v[16:17], s[4:5], v[8:9]
	v_add_f64 v[18:19], v[18:19], v[20:21]
	v_add_f64 v[20:21], v[4:5], v[108:109]
	v_fma_f64 v[22:23], v[22:23], -0.5, v[4:5]
	v_add_f64 v[30:31], v[104:105], -v[98:99]
	v_fma_f64 v[16:17], v[16:17], s[12:13], v[26:27]
	v_add_f64 v[26:27], v[108:109], v[118:119]
	v_add_f64 v[12:13], v[12:13], v[136:137]
	v_fma_f64 v[14:15], v[10:11], s[14:15], v[14:15]
	v_fma_f64 v[24:25], v[28:29], s[6:7], v[24:25]
	;; [unrolled: 1-line block ×3, first 2 shown]
	v_add_f64 v[20:21], v[20:21], v[110:111]
	v_add_f64 v[28:29], v[108:109], -v[110:111]
	v_add_f64 v[32:33], v[118:119], -v[114:115]
	v_fma_f64 v[34:35], v[30:31], s[4:5], v[22:23]
	v_add_f64 v[36:37], v[106:107], -v[100:101]
	v_fma_f64 v[4:5], v[26:27], -0.5, v[4:5]
	ds_write2_b64 v187, v[12:13], v[14:15] offset1:10
	v_fma_f64 v[12:13], v[18:19], s[14:15], v[24:25]
	v_fma_f64 v[8:9], v[18:19], s[14:15], v[8:9]
	;; [unrolled: 1-line block ×3, first 2 shown]
	v_add_f64 v[16:17], v[20:21], v[114:115]
	v_add_f64 v[20:21], v[110:111], -v[108:109]
	v_add_f64 v[24:25], v[114:115], -v[118:119]
	v_add_f64 v[14:15], v[28:29], v[32:33]
	v_fma_f64 v[18:19], v[36:37], s[6:7], v[34:35]
	v_fma_f64 v[26:27], v[36:37], s[10:11], v[4:5]
	;; [unrolled: 1-line block ×3, first 2 shown]
	ds_write2_b64 v187, v[12:13], v[8:9] offset0:20 offset1:30
	ds_write_b64 v187, v[10:11] offset:320
	v_mul_u32_u24_e32 v28, 0x190, v180
	v_add_f64 v[8:9], v[16:17], v[118:119]
	v_add_f64 v[12:13], v[20:21], v[24:25]
	v_lshlrev_b32_e32 v20, 3, v177
	v_fma_f64 v[10:11], v[14:15], s[14:15], v[18:19]
	v_fma_f64 v[16:17], v[30:31], s[6:7], v[26:27]
	v_add_f64 v[18:19], v[92:93], v[94:95]
	v_add3_u32 v203, 0, v28, v20
	v_fma_f64 v[20:21], v[30:31], s[10:11], v[22:23]
	v_fma_f64 v[4:5], v[30:31], s[12:13], v[4:5]
	v_add_f64 v[22:23], v[88:89], v[96:97]
	v_add_f64 v[24:25], v[96:97], -v[94:95]
	ds_write2_b64 v203, v[8:9], v[10:11] offset1:10
	v_fma_f64 v[8:9], v[12:13], s[14:15], v[16:17]
	v_fma_f64 v[10:11], v[18:19], -0.5, v[6:7]
	v_add_f64 v[16:17], v[6:7], v[88:89]
	v_add_f64 v[18:19], v[82:83], -v[84:85]
	v_fma_f64 v[20:21], v[36:37], s[12:13], v[20:21]
	v_fma_f64 v[4:5], v[12:13], s[14:15], v[4:5]
	v_fma_f64 v[6:7], v[22:23], -0.5, v[6:7]
	v_add_f64 v[12:13], v[90:91], -v[86:87]
	v_add_f64 v[22:23], v[88:89], -v[92:93]
	;; [unrolled: 1-line block ×3, first 2 shown]
	v_add_f64 v[16:17], v[16:17], v[92:93]
	v_fma_f64 v[26:27], v[18:19], s[4:5], v[10:11]
	v_fma_f64 v[14:15], v[14:15], s[14:15], v[20:21]
	v_add_f64 v[20:21], v[92:93], -v[88:89]
	ds_write2_b64 v203, v[8:9], v[4:5] offset0:20 offset1:30
	ds_write_b64 v203, v[14:15] offset:320
	v_fma_f64 v[30:31], v[12:13], s[10:11], v[6:7]
	v_fma_f64 v[6:7], v[12:13], s[4:5], v[6:7]
	v_add_f64 v[22:23], v[22:23], v[24:25]
	v_add_f64 v[16:17], v[16:17], v[94:95]
	v_fma_f64 v[24:25], v[12:13], s[6:7], v[26:27]
	v_add_f64 v[4:5], v[20:21], v[28:29]
	v_fma_f64 v[10:11], v[18:19], s[10:11], v[10:11]
	v_mul_u32_u24_e32 v20, 0x190, v184
	v_fma_f64 v[8:9], v[18:19], s[6:7], v[30:31]
	v_fma_f64 v[6:7], v[18:19], s[12:13], v[6:7]
	v_add_f64 v[18:19], v[78:79], v[152:153]
	v_add_f64 v[14:15], v[16:17], v[96:97]
	v_fma_f64 v[16:17], v[22:23], s[14:15], v[24:25]
	v_lshlrev_b32_e32 v21, 3, v183
	v_add3_u32 v180, 0, v20, v21
	v_fma_f64 v[10:11], v[12:13], s[12:13], v[10:11]
	v_fma_f64 v[8:9], v[4:5], s[14:15], v[8:9]
	;; [unrolled: 1-line block ×3, first 2 shown]
	v_add_f64 v[6:7], v[80:81], v[156:157]
	v_add_f64 v[12:13], v[0:1], v[80:81]
	ds_write2_b64 v180, v[14:15], v[16:17] offset1:10
	v_fma_f64 v[14:15], v[18:19], -0.5, v[0:1]
	v_add_f64 v[16:17], v[74:75], -v[158:159]
	v_fma_f64 v[10:11], v[22:23], s[14:15], v[10:11]
	v_add_f64 v[20:21], v[78:79], -v[80:81]
	ds_write2_b64 v180, v[8:9], v[4:5] offset0:20 offset1:30
	v_add_f64 v[4:5], v[76:77], -v[150:151]
	v_fma_f64 v[0:1], v[6:7], -0.5, v[0:1]
	v_add_f64 v[6:7], v[80:81], -v[78:79]
	v_add_f64 v[8:9], v[156:157], -v[152:153]
	v_add_f64 v[12:13], v[12:13], v[78:79]
	v_fma_f64 v[18:19], v[16:17], s[4:5], v[14:15]
	v_add_f64 v[22:23], v[152:153], -v[156:157]
	ds_write_b64 v180, v[10:11] offset:320
	v_fma_f64 v[14:15], v[16:17], s[10:11], v[14:15]
	v_fma_f64 v[24:25], v[4:5], s[10:11], v[0:1]
	;; [unrolled: 1-line block ×3, first 2 shown]
	v_add_f64 v[6:7], v[6:7], v[8:9]
	v_add_f64 v[8:9], v[12:13], v[152:153]
	v_fma_f64 v[10:11], v[4:5], s[6:7], v[18:19]
	v_add_f64 v[12:13], v[20:21], v[22:23]
	v_mul_u32_u24_e32 v26, 0x190, v186
	v_fma_f64 v[4:5], v[4:5], s[12:13], v[14:15]
	v_fma_f64 v[18:19], v[16:17], s[6:7], v[24:25]
	;; [unrolled: 1-line block ×3, first 2 shown]
	v_add_f64 v[16:17], v[72:73], v[146:147]
	v_add_f64 v[8:9], v[8:9], v[156:157]
	v_fma_f64 v[10:11], v[6:7], s[14:15], v[10:11]
	v_add_f64 v[14:15], v[2:3], v[70:71]
	v_lshlrev_b32_e32 v20, 3, v185
	v_add3_u32 v204, 0, v26, v20
	v_fma_f64 v[18:19], v[12:13], s[14:15], v[18:19]
	v_fma_f64 v[0:1], v[12:13], s[14:15], v[0:1]
	v_fma_f64 v[12:13], v[16:17], -0.5, v[2:3]
	v_add_f64 v[16:17], v[70:71], v[154:155]
	v_add_f64 v[24:25], v[68:69], -v[148:149]
	ds_write2_b64 v204, v[8:9], v[10:11] offset1:10
	ds_write2_b64 v204, v[18:19], v[0:1] offset0:20 offset1:30
	v_fma_f64 v[0:1], v[6:7], s[14:15], v[4:5]
	v_add_f64 v[4:5], v[14:15], v[72:73]
	v_fma_f64 v[2:3], v[16:17], -0.5, v[2:3]
	v_add_f64 v[14:15], v[72:73], -v[70:71]
	v_add_f64 v[16:17], v[146:147], -v[154:155]
	;; [unrolled: 1-line block ×5, first 2 shown]
	v_fma_f64 v[10:11], v[24:25], s[4:5], v[12:13]
	v_fma_f64 v[12:13], v[24:25], s[10:11], v[12:13]
	ds_write_b64 v204, v[0:1] offset:320
	v_add_f64 v[0:1], v[4:5], v[146:147]
	v_add_f64 v[14:15], v[14:15], v[16:17]
	;; [unrolled: 1-line block ×4, first 2 shown]
	v_fma_f64 v[18:19], v[6:7], s[10:11], v[2:3]
	v_fma_f64 v[2:3], v[6:7], s[4:5], v[2:3]
	v_add_f64 v[8:9], v[20:21], v[22:23]
	v_fma_f64 v[10:11], v[6:7], s[6:7], v[10:11]
	v_fma_f64 v[6:7], v[6:7], s[12:13], v[12:13]
	v_add_f64 v[0:1], v[0:1], v[154:155]
	v_add_f64 v[16:17], v[16:17], v[134:135]
	v_fma_f64 v[185:186], v[4:5], -0.5, v[188:189]
	v_fma_f64 v[4:5], v[24:25], s[6:7], v[18:19]
	v_fma_f64 v[2:3], v[24:25], s[12:13], v[2:3]
	v_add_f64 v[12:13], v[126:127], -v[134:135]
	v_fma_f64 v[10:11], v[8:9], s[14:15], v[10:11]
	v_fma_f64 v[6:7], v[8:9], s[14:15], v[6:7]
	v_add_f64 v[18:19], v[140:141], -v[138:139]
	v_add_f64 v[8:9], v[16:17], v[138:139]
	v_add_f64 v[183:184], v[48:49], -v[44:45]
	v_fma_f64 v[4:5], v[14:15], s[14:15], v[4:5]
	v_fma_f64 v[2:3], v[14:15], s[14:15], v[2:3]
	v_mul_u32_u24_e32 v14, 0x190, v181
	v_lshlrev_b32_e32 v15, 3, v182
	v_add3_u32 v205, 0, v14, v15
	ds_write2_b64 v205, v[0:1], v[10:11] offset1:10
	ds_write2_b64 v205, v[4:5], v[2:3] offset0:20 offset1:30
	ds_write_b64 v205, v[6:7] offset:320
	v_add_f64 v[181:182], v[8:9], v[140:141]
	v_add_f64 v[0:1], v[126:127], v[140:141]
	v_add_f64 v[126:127], v[134:135], -v[126:127]
	v_add_f64 v[134:135], v[138:139], -v[140:141]
	v_add_f64 v[140:141], v[116:117], v[124:125]
	v_add_f64 v[192:193], v[50:51], -v[52:53]
	v_add_f64 v[112:113], v[112:113], -v[136:137]
	v_fma_f64 v[20:21], v[183:184], s[10:11], v[185:186]
	v_add_f64 v[128:129], v[128:129], -v[132:133]
	v_fma_f64 v[138:139], v[0:1], -0.5, v[188:189]
	v_add_f64 v[188:189], v[190:191], v[102:103]
	v_add_f64 v[126:127], v[126:127], v[134:135]
	v_fma_f64 v[140:141], v[140:141], -0.5, v[190:191]
	v_add_f64 v[132:133], v[102:103], -v[116:117]
	v_add_f64 v[198:199], v[130:131], -v[124:125]
	v_add_f64 v[194:195], v[12:13], v[18:19]
	v_fma_f64 v[12:13], v[192:193], s[12:13], v[20:21]
	v_fma_f64 v[134:135], v[192:193], s[4:5], v[138:139]
	;; [unrolled: 1-line block ×4, first 2 shown]
	v_add_f64 v[185:186], v[102:103], v[130:131]
	v_add_f64 v[188:189], v[188:189], v[116:117]
	v_fma_f64 v[200:201], v[112:113], s[10:11], v[140:141]
	v_add_f64 v[132:133], v[132:133], v[198:199]
	v_add_f64 v[102:103], v[116:117], -v[102:103]
	v_fma_f64 v[134:135], v[183:184], s[12:13], v[134:135]
	v_fma_f64 v[136:137], v[183:184], s[6:7], v[136:137]
	;; [unrolled: 1-line block ×3, first 2 shown]
	v_fma_f64 v[183:184], v[185:186], -0.5, v[190:191]
	v_add_f64 v[185:186], v[188:189], v[124:125]
	v_fma_f64 v[188:189], v[128:129], s[12:13], v[200:201]
	v_add_f64 v[116:117], v[124:125], -v[130:131]
	v_fma_f64 v[196:197], v[194:195], s[14:15], v[12:13]
	v_fma_f64 v[134:135], v[126:127], s[14:15], v[134:135]
	;; [unrolled: 1-line block ×4, first 2 shown]
	v_lshl_add_u32 v176, v120, 3, 0
	v_add_f64 v[124:125], v[185:186], v[130:131]
	v_fma_f64 v[138:139], v[132:133], s[14:15], v[188:189]
	v_fma_f64 v[130:131], v[128:129], s[4:5], v[183:184]
	v_add_f64 v[102:103], v[102:103], v[116:117]
	v_add_f64 v[116:117], v[106:107], v[100:101]
	v_add_u32_e32 v177, 0x1c00, v176
	s_waitcnt lgkmcnt(0)
	s_barrier
	ds_read_b64 v[66:67], v121 offset:6480
	ds_read_b64 v[64:65], v176 offset:9720
	ds_read2_b64 v[12:15], v121 offset1:135
	ds_read2_b64 v[52:55], v161 offset0:70 offset1:205
	ds_read2_b64 v[48:51], v160 offset0:12 offset1:147
	;; [unrolled: 1-line block ×13, first 2 shown]
	s_waitcnt lgkmcnt(0)
	s_barrier
	ds_write2_b64 v202, v[181:182], v[196:197] offset1:10
	ds_write2_b64 v202, v[134:135], v[126:127] offset0:20 offset1:30
	ds_write_b64 v202, v[136:137] offset:320
	ds_write2_b64 v187, v[124:125], v[138:139] offset1:10
	v_add_f64 v[124:125], v[104:105], v[98:99]
	v_fma_f64 v[126:127], v[128:129], s[10:11], v[183:184]
	v_fma_f64 v[130:131], v[112:113], s[12:13], v[130:131]
	;; [unrolled: 1-line block ×3, first 2 shown]
	v_add_f64 v[108:109], v[108:109], -v[118:119]
	v_add_f64 v[118:119], v[60:61], v[104:105]
	v_fma_f64 v[116:117], v[116:117], -0.5, v[60:61]
	v_add_f64 v[110:111], v[110:111], -v[114:115]
	v_fma_f64 v[60:61], v[124:125], -0.5, v[60:61]
	v_fma_f64 v[112:113], v[112:113], s[6:7], v[126:127]
	v_fma_f64 v[126:127], v[102:103], s[14:15], v[130:131]
	;; [unrolled: 1-line block ×3, first 2 shown]
	v_add_f64 v[124:125], v[104:105], -v[106:107]
	v_add_f64 v[128:129], v[98:99], -v[100:101]
	v_add_f64 v[118:119], v[118:119], v[106:107]
	v_fma_f64 v[130:131], v[108:109], s[10:11], v[116:117]
	v_add_f64 v[104:105], v[106:107], -v[104:105]
	v_add_f64 v[106:107], v[100:101], -v[98:99]
	v_fma_f64 v[134:135], v[110:111], s[4:5], v[60:61]
	v_fma_f64 v[60:61], v[110:111], s[10:11], v[60:61]
	v_fma_f64 v[116:117], v[108:109], s[4:5], v[116:117]
	v_add_f64 v[124:125], v[124:125], v[128:129]
	v_add_f64 v[100:101], v[118:119], v[100:101]
	v_fma_f64 v[118:119], v[110:111], s[12:13], v[130:131]
	v_fma_f64 v[102:103], v[102:103], s[14:15], v[112:113]
	v_add_f64 v[104:105], v[104:105], v[106:107]
	v_fma_f64 v[106:107], v[108:109], s[12:13], v[134:135]
	v_fma_f64 v[60:61], v[108:109], s[6:7], v[60:61]
	;; [unrolled: 1-line block ×4, first 2 shown]
	v_add_f64 v[98:99], v[100:101], v[98:99]
	v_fma_f64 v[100:101], v[124:125], s[14:15], v[118:119]
	ds_write2_b64 v187, v[126:127], v[102:103] offset0:20 offset1:30
	v_add_f64 v[102:103], v[90:91], v[86:87]
	v_fma_f64 v[106:107], v[104:105], s[14:15], v[106:107]
	v_fma_f64 v[60:61], v[104:105], s[14:15], v[60:61]
	;; [unrolled: 1-line block ×3, first 2 shown]
	v_add_f64 v[108:109], v[82:83], v[84:85]
	ds_write_b64 v187, v[110:111] offset:320
	ds_write2_b64 v203, v[98:99], v[100:101] offset1:10
	v_add_f64 v[98:99], v[62:63], v[82:83]
	v_add_f64 v[88:89], v[88:89], -v[96:97]
	v_fma_f64 v[100:101], v[102:103], -0.5, v[62:63]
	ds_write2_b64 v203, v[106:107], v[60:61] offset0:20 offset1:30
	ds_write_b64 v203, v[104:105] offset:320
	v_add_f64 v[96:97], v[84:85], -v[86:87]
	v_fma_f64 v[60:61], v[108:109], -0.5, v[62:63]
	v_add_f64 v[62:63], v[92:93], -v[94:95]
	v_add_f64 v[94:95], v[98:99], v[90:91]
	v_add_f64 v[92:93], v[82:83], -v[90:91]
	v_fma_f64 v[98:99], v[88:89], s[10:11], v[100:101]
	v_fma_f64 v[100:101], v[88:89], s[4:5], v[100:101]
	v_add_f64 v[82:83], v[90:91], -v[82:83]
	v_add_f64 v[90:91], v[86:87], -v[84:85]
	;; [unrolled: 1-line block ×3, first 2 shown]
	v_fma_f64 v[102:103], v[62:63], s[4:5], v[60:61]
	v_add_f64 v[86:87], v[94:95], v[86:87]
	v_fma_f64 v[60:61], v[62:63], s[10:11], v[60:61]
	v_add_f64 v[92:93], v[92:93], v[96:97]
	v_fma_f64 v[94:95], v[62:63], s[12:13], v[98:99]
	v_fma_f64 v[62:63], v[62:63], s[6:7], v[100:101]
	v_add_f64 v[96:97], v[56:57], v[74:75]
	v_add_f64 v[82:83], v[82:83], v[90:91]
	v_fma_f64 v[90:91], v[88:89], s[12:13], v[102:103]
	v_add_f64 v[84:85], v[86:87], v[84:85]
	v_add_f64 v[86:87], v[76:77], v[150:151]
	v_fma_f64 v[60:61], v[88:89], s[6:7], v[60:61]
	v_fma_f64 v[88:89], v[92:93], s[14:15], v[94:95]
	;; [unrolled: 1-line block ×3, first 2 shown]
	v_add_f64 v[92:93], v[96:97], v[76:77]
	v_add_f64 v[94:95], v[74:75], -v[76:77]
	v_add_f64 v[96:97], v[74:75], v[158:159]
	v_add_f64 v[98:99], v[158:159], -v[150:151]
	v_fma_f64 v[86:87], v[86:87], -0.5, v[56:57]
	v_fma_f64 v[90:91], v[82:83], s[14:15], v[90:91]
	v_fma_f64 v[60:61], v[82:83], s[14:15], v[60:61]
	v_add_f64 v[78:79], v[78:79], -v[152:153]
	v_add_f64 v[82:83], v[92:93], v[150:151]
	v_add_f64 v[74:75], v[76:77], -v[74:75]
	v_fma_f64 v[56:57], v[96:97], -0.5, v[56:57]
	v_add_f64 v[92:93], v[94:95], v[98:99]
	v_fma_f64 v[76:77], v[80:81], s[10:11], v[86:87]
	v_fma_f64 v[86:87], v[80:81], s[4:5], v[86:87]
	v_add_f64 v[94:95], v[144:145], v[142:143]
	v_add_f64 v[100:101], v[68:69], v[148:149]
	v_add_f64 v[96:97], v[150:151], -v[158:159]
	v_add_f64 v[70:71], v[70:71], -v[154:155]
	v_fma_f64 v[98:99], v[78:79], s[4:5], v[56:57]
	v_fma_f64 v[56:57], v[78:79], s[10:11], v[56:57]
	;; [unrolled: 1-line block ×4, first 2 shown]
	v_fma_f64 v[86:87], v[94:95], -0.5, v[58:59]
	v_add_f64 v[94:95], v[58:59], v[68:69]
	v_fma_f64 v[58:59], v[100:101], -0.5, v[58:59]
	v_add_f64 v[72:73], v[72:73], -v[146:147]
	v_add_f64 v[74:75], v[74:75], v[96:97]
	v_fma_f64 v[96:97], v[80:81], s[12:13], v[98:99]
	v_add_f64 v[98:99], v[68:69], -v[144:145]
	v_add_f64 v[100:101], v[148:149], -v[142:143]
	v_fma_f64 v[102:103], v[70:71], s[10:11], v[86:87]
	v_add_f64 v[94:95], v[94:95], v[144:145]
	v_fma_f64 v[86:87], v[70:71], s[4:5], v[86:87]
	v_add_f64 v[68:69], v[144:145], -v[68:69]
	v_add_f64 v[104:105], v[142:143], -v[148:149]
	v_fma_f64 v[106:107], v[72:73], s[4:5], v[58:59]
	v_fma_f64 v[58:59], v[72:73], s[10:11], v[58:59]
	;; [unrolled: 1-line block ×3, first 2 shown]
	v_add_f64 v[80:81], v[98:99], v[100:101]
	v_fma_f64 v[98:99], v[72:73], s[12:13], v[102:103]
	v_fma_f64 v[72:73], v[72:73], s[6:7], v[86:87]
	v_add_f64 v[86:87], v[94:95], v[142:143]
	v_add_f64 v[68:69], v[68:69], v[104:105]
	v_fma_f64 v[94:95], v[70:71], s[12:13], v[106:107]
	v_fma_f64 v[58:59], v[70:71], s[6:7], v[58:59]
	v_add_f64 v[82:83], v[82:83], v[158:159]
	v_fma_f64 v[70:71], v[92:93], s[14:15], v[76:77]
	v_fma_f64 v[76:77], v[92:93], s[14:15], v[78:79]
	;; [unrolled: 1-line block ×4, first 2 shown]
	v_add_f64 v[74:75], v[86:87], v[148:149]
	v_fma_f64 v[86:87], v[80:81], s[14:15], v[98:99]
	v_fma_f64 v[72:73], v[80:81], s[14:15], v[72:73]
	;; [unrolled: 1-line block ×4, first 2 shown]
	ds_write2_b64 v180, v[84:85], v[88:89] offset1:10
	ds_write2_b64 v180, v[90:91], v[60:61] offset0:20 offset1:30
	ds_write_b64 v180, v[62:63] offset:320
	ds_write2_b64 v204, v[82:83], v[70:71] offset1:10
	ds_write2_b64 v204, v[78:79], v[56:57] offset0:20 offset1:30
	ds_write_b64 v204, v[76:77] offset:320
	;; [unrolled: 3-line block ×3, first 2 shown]
	v_mov_b32_e32 v56, 41
	v_mul_lo_u16_sdwa v56, v120, v56 dst_sel:DWORD dst_unused:UNUSED_PAD src0_sel:BYTE_0 src1_sel:DWORD
	v_lshrrev_b16_e32 v58, 11, v56
	v_mul_lo_u16_e32 v56, 50, v58
	v_sub_u16_e32 v126, v120, v56
	v_mov_b32_e32 v56, 5
	v_lshlrev_b32_sdwa v59, v56, v126 dst_sel:DWORD dst_unused:UNUSED_PAD src0_sel:DWORD src1_sel:BYTE_0
	s_waitcnt lgkmcnt(0)
	s_barrier
	global_load_dwordx4 v[60:63], v59, s[8:9] offset:640
	v_lshrrev_b16_e32 v56, 1, v175
	v_mul_u32_u24_e32 v56, 0x147b, v56
	v_lshrrev_b32_e32 v56, 17, v56
	v_mul_lo_u16_e32 v57, 50, v56
	v_sub_u16_e32 v57, v175, v57
	v_lshlrev_b32_e32 v80, 5, v57
	global_load_dwordx4 v[68:71], v80, s[8:9] offset:640
	global_load_dwordx4 v[72:75], v59, s[8:9] offset:656
	;; [unrolled: 1-line block ×3, first 2 shown]
	v_lshrrev_b16_e32 v114, 1, v178
	v_mul_u32_u24_e32 v59, 0x147b, v114
	v_lshrrev_b32_e32 v59, 17, v59
	v_mul_lo_u16_e32 v80, 50, v59
	v_sub_u16_e32 v127, v178, v80
	v_lshlrev_b32_e32 v94, 5, v127
	global_load_dwordx4 v[80:83], v94, s[8:9] offset:640
	v_lshrrev_b16_e32 v115, 1, v172
	v_mul_u32_u24_e32 v88, 0x147b, v115
	v_lshrrev_b32_e32 v132, 17, v88
	v_mul_lo_u16_e32 v88, 50, v132
	v_sub_u16_e32 v133, v172, v88
	v_lshlrev_b32_e32 v95, 5, v133
	global_load_dwordx4 v[88:91], v95, s[8:9] offset:640
	ds_read2_b64 v[84:87], v161 offset0:70 offset1:205
	global_load_dwordx4 v[100:103], v94, s[8:9] offset:656
	global_load_dwordx4 v[110:113], v95, s[8:9] offset:656
	v_lshrrev_b16_e32 v116, 1, v173
	v_mul_u32_u24_e32 v94, 0x147b, v116
	v_lshrrev_b32_e32 v136, 17, v94
	v_lshrrev_b16_e32 v117, 1, v174
	v_mul_lo_u16_e32 v94, 50, v136
	v_mul_u32_u24_e32 v95, 0x147b, v117
	v_sub_u16_e32 v137, v173, v94
	v_lshrrev_b32_e32 v135, 17, v95
	v_lshlrev_b32_e32 v94, 5, v137
	v_mul_lo_u16_e32 v95, 50, v135
	global_load_dwordx4 v[146:149], v94, s[8:9] offset:640
	v_sub_u16_e32 v134, v174, v95
	v_lshlrev_b32_e32 v95, 5, v134
	global_load_dwordx4 v[150:153], v95, s[8:9] offset:640
	global_load_dwordx4 v[154:157], v94, s[8:9] offset:656
	;; [unrolled: 1-line block ×3, first 2 shown]
	v_add_u32_e32 v130, 0x32a, v120
	v_lshrrev_b16_e32 v118, 1, v130
	v_mul_u32_u24_e32 v94, 0x147b, v118
	v_add_u32_e32 v128, 0x3b1, v120
	v_lshrrev_b32_e32 v138, 17, v94
	v_lshrrev_b16_e32 v119, 1, v128
	v_mul_lo_u16_e32 v94, 50, v138
	v_mul_u32_u24_e32 v95, 0x147b, v119
	v_sub_u16_e32 v139, v130, v94
	v_lshrrev_b32_e32 v143, 17, v95
	v_lshlrev_b32_e32 v94, 5, v139
	v_mul_lo_u16_e32 v95, 50, v143
	global_load_dwordx4 v[184:187], v94, s[8:9] offset:640
	v_sub_u16_e32 v142, v128, v95
	v_lshlrev_b32_e32 v95, 5, v142
	global_load_dwordx4 v[188:191], v95, s[8:9] offset:640
	global_load_dwordx4 v[192:195], v94, s[8:9] offset:656
	;; [unrolled: 1-line block ×3, first 2 shown]
	v_add_u32_e32 v131, 0x438, v120
	v_add_u32_e32 v129, 0x4bf, v120
	v_lshrrev_b16_e32 v124, 1, v131
	v_lshrrev_b16_e32 v125, 1, v129
	v_mul_u32_u24_e32 v94, 0x147b, v124
	v_mul_u32_u24_e32 v95, 0x147b, v125
	v_lshrrev_b32_e32 v140, 17, v94
	v_lshrrev_b32_e32 v144, 17, v95
	v_mul_lo_u16_e32 v94, 50, v140
	v_mul_lo_u16_e32 v95, 50, v144
	v_sub_u16_e32 v141, v131, v94
	v_sub_u16_e32 v145, v129, v95
	v_lshlrev_b32_e32 v94, 5, v141
	v_lshlrev_b32_e32 v95, 5, v145
	global_load_dwordx4 v[200:203], v94, s[8:9] offset:640
	global_load_dwordx4 v[204:207], v95, s[8:9] offset:640
	;; [unrolled: 1-line block ×4, first 2 shown]
	ds_read2_b64 v[96:99], v160 offset0:12 offset1:147
	s_mov_b32 s4, 0xe8584caa
	s_mov_b32 s5, 0xbfebb67a
	;; [unrolled: 1-line block ×4, first 2 shown]
	s_movk_i32 s10, 0x1000
	s_movk_i32 s11, 0x1b80
	s_mov_b32 s13, 0x91a3
	s_movk_i32 s12, 0x1c2
	s_waitcnt vmcnt(19) lgkmcnt(1)
	v_mul_f64 v[92:93], v[84:85], v[62:63]
	v_mul_f64 v[62:63], v[52:53], v[62:63]
	s_waitcnt vmcnt(16) lgkmcnt(0)
	v_mul_f64 v[104:105], v[98:99], v[78:79]
	v_fma_f64 v[52:53], v[52:53], v[60:61], v[92:93]
	v_mul_f64 v[92:93], v[86:87], v[70:71]
	v_fma_f64 v[158:159], v[84:85], v[60:61], -v[62:63]
	v_mul_f64 v[70:71], v[54:55], v[70:71]
	ds_read2_b64 v[60:63], v163 offset0:84 offset1:219
	v_mul_f64 v[84:85], v[96:97], v[74:75]
	v_mul_f64 v[74:75], v[48:49], v[74:75]
	;; [unrolled: 1-line block ×3, first 2 shown]
	v_fma_f64 v[106:107], v[50:51], v[76:77], v[104:105]
	v_fma_f64 v[94:95], v[54:55], v[68:69], v[92:93]
	s_waitcnt vmcnt(15) lgkmcnt(0)
	v_mul_f64 v[54:55], v[60:61], v[82:83]
	v_fma_f64 v[216:217], v[86:87], v[68:69], -v[70:71]
	v_mul_f64 v[68:69], v[40:41], v[82:83]
	v_fma_f64 v[218:219], v[48:49], v[72:73], v[84:85]
	v_fma_f64 v[220:221], v[96:97], v[72:73], -v[74:75]
	s_waitcnt vmcnt(13)
	v_mul_f64 v[72:73], v[32:33], v[102:103]
	ds_read2_b64 v[48:51], v164 offset0:26 offset1:161
	v_fma_f64 v[84:85], v[98:99], v[76:77], -v[78:79]
	v_fma_f64 v[96:97], v[40:41], v[80:81], v[54:55]
	v_mul_f64 v[40:41], v[62:63], v[90:91]
	v_fma_f64 v[222:223], v[60:61], v[80:81], -v[68:69]
	ds_read2_b64 v[68:71], v167 offset0:98 offset1:233
	s_waitcnt lgkmcnt(1)
	v_mul_f64 v[60:61], v[48:49], v[102:103]
	s_waitcnt vmcnt(12)
	v_mul_f64 v[74:75], v[50:51], v[112:113]
	v_mul_f64 v[54:55], v[42:43], v[90:91]
	v_fma_f64 v[102:103], v[48:49], v[100:101], -v[72:73]
	v_mul_f64 v[76:77], v[34:35], v[112:113]
	v_fma_f64 v[98:99], v[42:43], v[88:89], v[40:41]
	s_waitcnt vmcnt(11) lgkmcnt(0)
	v_mul_f64 v[40:41], v[68:69], v[148:149]
	s_waitcnt vmcnt(10)
	v_mul_f64 v[48:49], v[70:71], v[152:153]
	v_mul_f64 v[42:43], v[44:45], v[148:149]
	v_fma_f64 v[112:113], v[32:33], v[100:101], v[60:61]
	v_fma_f64 v[108:109], v[34:35], v[110:111], v[74:75]
	ds_read2_b64 v[32:35], v166 offset0:40 offset1:175
	v_fma_f64 v[54:55], v[62:63], v[88:89], -v[54:55]
	v_fma_f64 v[100:101], v[50:51], v[110:111], -v[76:77]
	v_fma_f64 v[88:89], v[44:45], v[146:147], v[40:41]
	v_mul_f64 v[44:45], v[46:47], v[152:153]
	v_fma_f64 v[86:87], v[46:47], v[150:151], v[48:49]
	s_waitcnt vmcnt(8)
	v_mul_f64 v[46:47], v[38:39], v[182:183]
	v_fma_f64 v[50:51], v[68:69], v[146:147], -v[42:43]
	s_waitcnt lgkmcnt(0)
	v_mul_f64 v[60:61], v[32:33], v[156:157]
	v_mul_f64 v[62:63], v[36:37], v[156:157]
	ds_read2_b64 v[40:43], v170 offset0:112 offset1:247
	v_mul_f64 v[68:69], v[34:35], v[182:183]
	v_fma_f64 v[44:45], v[70:71], v[150:151], -v[44:45]
	v_fma_f64 v[80:81], v[34:35], v[180:181], -v[46:47]
	s_waitcnt vmcnt(7) lgkmcnt(0)
	v_mul_f64 v[48:49], v[40:41], v[186:187]
	s_waitcnt vmcnt(6)
	v_mul_f64 v[46:47], v[42:43], v[190:191]
	v_fma_f64 v[110:111], v[36:37], v[154:155], v[60:61]
	v_fma_f64 v[90:91], v[32:33], v[154:155], -v[62:63]
	v_mul_f64 v[32:33], v[24:25], v[186:187]
	v_fma_f64 v[104:105], v[38:39], v[180:181], v[68:69]
	ds_read2_b64 v[36:39], v168 offset0:54 offset1:189
	v_fma_f64 v[78:79], v[24:25], v[184:185], v[48:49]
	v_mul_f64 v[24:25], v[26:27], v[190:191]
	v_fma_f64 v[60:61], v[26:27], v[188:189], v[46:47]
	s_waitcnt vmcnt(4) lgkmcnt(0)
	v_mul_f64 v[62:63], v[38:39], v[198:199]
	v_mul_f64 v[26:27], v[22:23], v[198:199]
	;; [unrolled: 1-line block ×3, first 2 shown]
	v_fma_f64 v[82:83], v[40:41], v[184:185], -v[32:33]
	ds_read2_b64 v[32:35], v169 offset0:62 offset1:197
	v_mul_f64 v[40:41], v[20:21], v[194:195]
	v_fma_f64 v[42:43], v[42:43], v[188:189], -v[24:25]
	v_fma_f64 v[70:71], v[22:23], v[196:197], v[62:63]
	s_waitcnt vmcnt(3) lgkmcnt(0)
	v_mul_f64 v[24:25], v[32:33], v[202:203]
	v_fma_f64 v[62:63], v[38:39], v[196:197], -v[26:27]
	s_waitcnt vmcnt(2)
	v_mul_f64 v[26:27], v[34:35], v[206:207]
	v_fma_f64 v[92:93], v[20:21], v[192:193], v[48:49]
	ds_read2_b64 v[20:23], v171 offset0:68 offset1:203
	v_fma_f64 v[68:69], v[36:37], v[192:193], -v[40:41]
	v_mul_f64 v[36:37], v[28:29], v[202:203]
	v_mul_f64 v[38:39], v[30:31], v[206:207]
	v_fma_f64 v[72:73], v[28:29], v[200:201], v[24:25]
	s_waitcnt vmcnt(1) lgkmcnt(0)
	v_mul_f64 v[24:25], v[20:21], v[210:211]
	v_fma_f64 v[74:75], v[30:31], v[204:205], v[26:27]
	v_add_f64 v[26:27], v[52:53], v[218:219]
	v_mul_f64 v[28:29], v[16:17], v[210:211]
	s_waitcnt vmcnt(0)
	v_mul_f64 v[40:41], v[18:19], v[214:215]
	v_fma_f64 v[32:33], v[32:33], v[200:201], -v[36:37]
	v_mul_f64 v[36:37], v[22:23], v[214:215]
	v_fma_f64 v[76:77], v[34:35], v[204:205], -v[38:39]
	v_fma_f64 v[146:147], v[16:17], v[208:209], v[24:25]
	v_add_f64 v[16:17], v[12:13], v[52:53]
	v_fma_f64 v[12:13], v[26:27], -0.5, v[12:13]
	v_add_f64 v[34:35], v[158:159], -v[220:221]
	v_fma_f64 v[152:153], v[22:23], v[212:213], -v[40:41]
	v_add_f64 v[40:41], v[94:95], v[106:107]
	v_fma_f64 v[150:151], v[18:19], v[212:213], v[36:37]
	v_lshlrev_b32_sdwa v18, v179, v126 dst_sel:DWORD dst_unused:UNUSED_PAD src0_sel:DWORD src1_sel:BYTE_0
	v_mul_u32_u24_e32 v19, 0x4b0, v58
	v_add_f64 v[36:37], v[16:17], v[218:219]
	v_add3_u32 v193, 0, v19, v18
	v_fma_f64 v[38:39], v[34:35], s[4:5], v[12:13]
	v_fma_f64 v[148:149], v[20:21], v[208:209], -v[28:29]
	ds_read_b64 v[154:155], v121 offset:6480
	ds_read_b64 v[156:157], v176 offset:9720
	ds_read2_b64 v[16:19], v121 offset1:135
	ds_read2_b64 v[20:23], v162 offset0:14 offset1:149
	ds_read2_b64 v[24:27], v165 offset0:28 offset1:163
	;; [unrolled: 1-line block ×3, first 2 shown]
	s_waitcnt lgkmcnt(0)
	s_barrier
	v_fma_f64 v[12:13], v[34:35], s[6:7], v[12:13]
	ds_write2_b64 v193, v[36:37], v[38:39] offset1:50
	v_add_f64 v[36:37], v[158:159], v[220:221]
	v_add_f64 v[38:39], v[216:217], v[84:85]
	v_fma_f64 v[34:35], v[40:41], -0.5, v[14:15]
	v_add_f64 v[40:41], v[96:97], v[112:113]
	v_add_f64 v[14:15], v[14:15], v[94:95]
	v_add_f64 v[48:49], v[216:217], -v[84:85]
	v_add_f64 v[46:47], v[16:17], v[158:159]
	v_add_f64 v[181:182], v[18:19], v[216:217]
	v_fma_f64 v[158:159], v[36:37], -0.5, v[16:17]
	v_fma_f64 v[179:180], v[38:39], -0.5, v[18:19]
	v_add_f64 v[16:17], v[8:9], v[96:97]
	v_fma_f64 v[8:9], v[40:41], -0.5, v[8:9]
	v_add_f64 v[18:19], v[222:223], -v[102:103]
	v_add_f64 v[14:15], v[14:15], v[106:107]
	v_fma_f64 v[36:37], v[48:49], s[4:5], v[34:35]
	ds_write_b64 v193, v[12:13] offset:800
	v_fma_f64 v[12:13], v[48:49], s[6:7], v[34:35]
	v_mul_u32_u24_e32 v38, 0x4b0, v56
	v_lshlrev_b32_e32 v39, 3, v57
	v_add3_u32 v194, 0, v38, v39
	v_add_f64 v[16:17], v[16:17], v[112:113]
	v_fma_f64 v[34:35], v[18:19], s[4:5], v[8:9]
	ds_write2_b64 v194, v[14:15], v[36:37] offset1:50
	v_add_f64 v[14:15], v[98:99], v[108:109]
	ds_write_b64 v194, v[12:13] offset:800
	v_mul_u32_u24_e32 v12, 0x4b0, v59
	v_lshlrev_b32_e32 v13, 3, v127
	v_add3_u32 v195, 0, v12, v13
	v_add_f64 v[12:13], v[222:223], v[102:103]
	ds_write2_b64 v195, v[16:17], v[34:35] offset1:50
	v_add_f64 v[16:17], v[54:55], v[100:101]
	v_fma_f64 v[14:15], v[14:15], -0.5, v[10:11]
	v_add_f64 v[10:11], v[10:11], v[98:99]
	v_add_f64 v[34:35], v[54:55], -v[100:101]
	v_fma_f64 v[8:9], v[18:19], s[6:7], v[8:9]
	v_add_f64 v[18:19], v[88:89], v[110:111]
	v_fma_f64 v[183:184], v[12:13], -0.5, v[20:21]
	v_add_f64 v[126:127], v[20:21], v[222:223]
	v_fma_f64 v[185:186], v[16:17], -0.5, v[22:23]
	v_add_f64 v[16:17], v[4:5], v[88:89]
	v_add_f64 v[10:11], v[10:11], v[108:109]
	v_fma_f64 v[12:13], v[34:35], s[4:5], v[14:15]
	v_fma_f64 v[14:15], v[34:35], s[6:7], v[14:15]
	v_fma_f64 v[4:5], v[18:19], -0.5, v[4:5]
	v_add_f64 v[18:19], v[50:51], -v[90:91]
	ds_write_b64 v195, v[8:9] offset:800
	v_mul_u32_u24_e32 v8, 0x4b0, v132
	v_lshlrev_b32_e32 v9, 3, v133
	v_add3_u32 v196, 0, v8, v9
	ds_write2_b64 v196, v[10:11], v[12:13] offset1:50
	v_add_f64 v[8:9], v[16:17], v[110:111]
	v_add_f64 v[12:13], v[86:87], v[104:105]
	v_fma_f64 v[10:11], v[18:19], s[4:5], v[4:5]
	ds_write_b64 v196, v[14:15] offset:800
	v_mul_u32_u24_e32 v14, 0x4b0, v136
	v_lshlrev_b32_e32 v15, 3, v137
	v_add3_u32 v197, 0, v14, v15
	v_add_f64 v[14:15], v[50:51], v[90:91]
	v_add_f64 v[16:17], v[44:45], v[80:81]
	v_fma_f64 v[4:5], v[18:19], s[6:7], v[4:5]
	ds_write2_b64 v197, v[8:9], v[10:11] offset1:50
	v_fma_f64 v[8:9], v[12:13], -0.5, v[6:7]
	v_add_f64 v[6:7], v[6:7], v[86:87]
	v_add_f64 v[10:11], v[44:45], -v[80:81]
	v_add_f64 v[12:13], v[78:79], v[92:93]
	v_fma_f64 v[136:137], v[14:15], -0.5, v[24:25]
	v_fma_f64 v[189:190], v[16:17], -0.5, v[26:27]
	ds_write_b64 v197, v[4:5] offset:800
	v_add_f64 v[14:15], v[60:61], v[70:71]
	v_add_f64 v[16:17], v[66:67], v[78:79]
	;; [unrolled: 1-line block ×3, first 2 shown]
	v_fma_f64 v[6:7], v[10:11], s[4:5], v[8:9]
	v_fma_f64 v[12:13], v[12:13], -0.5, v[66:67]
	v_add_f64 v[18:19], v[82:83], -v[68:69]
	v_mul_u32_u24_e32 v20, 0x4b0, v135
	v_lshlrev_b32_e32 v21, 3, v134
	v_add3_u32 v198, 0, v20, v21
	v_fma_f64 v[8:9], v[10:11], s[6:7], v[8:9]
	v_add_f64 v[10:11], v[16:17], v[92:93]
	ds_write2_b64 v198, v[4:5], v[6:7] offset1:50
	v_add_f64 v[4:5], v[0:1], v[60:61]
	v_fma_f64 v[0:1], v[14:15], -0.5, v[0:1]
	v_add_f64 v[6:7], v[42:43], -v[62:63]
	v_fma_f64 v[14:15], v[18:19], s[4:5], v[12:13]
	v_fma_f64 v[12:13], v[18:19], s[6:7], v[12:13]
	v_mul_u32_u24_e32 v16, 0x4b0, v138
	v_lshlrev_b32_e32 v17, 3, v139
	v_add3_u32 v199, 0, v16, v17
	ds_write_b64 v198, v[8:9] offset:800
	v_add_f64 v[4:5], v[4:5], v[70:71]
	v_fma_f64 v[8:9], v[6:7], s[4:5], v[0:1]
	ds_write2_b64 v199, v[10:11], v[14:15] offset1:50
	ds_write_b64 v199, v[12:13] offset:800
	v_add_f64 v[10:11], v[72:73], v[146:147]
	v_mul_u32_u24_e32 v12, 0x4b0, v143
	v_lshlrev_b32_e32 v13, 3, v142
	v_add3_u32 v200, 0, v12, v13
	v_fma_f64 v[0:1], v[6:7], s[6:7], v[0:1]
	v_add_f64 v[6:7], v[74:75], v[150:151]
	ds_write2_b64 v200, v[4:5], v[8:9] offset1:50
	v_add_f64 v[4:5], v[42:43], v[62:63]
	v_add_f64 v[8:9], v[32:33], v[148:149]
	v_fma_f64 v[10:11], v[10:11], -0.5, v[2:3]
	v_add_f64 v[2:3], v[2:3], v[72:73]
	v_add_f64 v[12:13], v[32:33], -v[148:149]
	ds_write_b64 v200, v[0:1] offset:800
	v_add_f64 v[94:95], v[94:95], -v[106:107]
	v_add_f64 v[187:188], v[22:23], v[54:55]
	v_fma_f64 v[134:135], v[4:5], -0.5, v[28:29]
	v_fma_f64 v[138:139], v[8:9], -0.5, v[30:31]
	;; [unrolled: 1-line block ×3, first 2 shown]
	v_add_f64 v[6:7], v[64:65], v[74:75]
	v_add_f64 v[8:9], v[76:77], -v[152:153]
	v_add_f64 v[2:3], v[2:3], v[146:147]
	v_fma_f64 v[14:15], v[12:13], s[4:5], v[10:11]
	v_fma_f64 v[0:1], v[12:13], s[6:7], v[10:11]
	v_mul_u32_u24_e32 v12, 0x4b0, v140
	v_lshlrev_b32_e32 v13, 3, v141
	v_add_f64 v[140:141], v[52:53], -v[218:219]
	v_add3_u32 v201, 0, v12, v13
	v_add_f64 v[6:7], v[6:7], v[150:151]
	v_fma_f64 v[10:11], v[8:9], s[4:5], v[4:5]
	ds_write2_b64 v201, v[2:3], v[14:15] offset1:50
	v_fma_f64 v[2:3], v[8:9], s[6:7], v[4:5]
	ds_write_b64 v201, v[0:1] offset:800
	v_mul_u32_u24_e32 v0, 0x4b0, v144
	v_lshlrev_b32_e32 v1, 3, v145
	v_add_f64 v[64:65], v[46:47], v[220:221]
	v_fma_f64 v[144:145], v[140:141], s[6:7], v[158:159]
	v_add3_u32 v202, 0, v0, v1
	v_add_f64 v[132:133], v[24:25], v[50:51]
	v_add_f64 v[191:192], v[26:27], v[44:45]
	;; [unrolled: 1-line block ×4, first 2 shown]
	ds_write2_b64 v202, v[6:7], v[10:11] offset1:50
	ds_write_b64 v202, v[2:3] offset:800
	s_waitcnt lgkmcnt(0)
	s_barrier
	ds_read_b64 v[58:59], v121 offset:6480
	ds_read_b64 v[56:57], v176 offset:9720
	ds_read2_b64 v[12:15], v121 offset1:135
	ds_read2_b64 v[52:55], v161 offset0:70 offset1:205
	ds_read2_b64 v[48:51], v160 offset0:12 offset1:147
	;; [unrolled: 1-line block ×13, first 2 shown]
	s_waitcnt lgkmcnt(0)
	s_barrier
	v_add_f64 v[96:97], v[96:97], -v[112:113]
	ds_write2_b64 v193, v[64:65], v[144:145] offset1:50
	v_fma_f64 v[64:65], v[140:141], s[4:5], v[158:159]
	v_add_f64 v[84:85], v[181:182], v[84:85]
	v_add_f64 v[98:99], v[98:99], -v[108:109]
	v_fma_f64 v[106:107], v[94:95], s[6:7], v[179:180]
	v_fma_f64 v[94:95], v[94:95], s[4:5], v[179:180]
	v_add_f64 v[102:103], v[126:127], v[102:103]
	v_fma_f64 v[108:109], v[96:97], s[6:7], v[183:184]
	v_fma_f64 v[96:97], v[96:97], s[4:5], v[183:184]
	ds_write_b64 v193, v[64:65] offset:800
	v_add_f64 v[64:65], v[187:188], v[100:101]
	v_fma_f64 v[100:101], v[98:99], s[6:7], v[185:186]
	ds_write2_b64 v194, v[84:85], v[106:107] offset1:50
	ds_write_b64 v194, v[94:95] offset:800
	v_add_f64 v[84:85], v[88:89], -v[110:111]
	v_add_f64 v[86:87], v[86:87], -v[104:105]
	ds_write2_b64 v195, v[102:103], v[108:109] offset1:50
	ds_write_b64 v195, v[96:97] offset:800
	v_fma_f64 v[88:89], v[98:99], s[4:5], v[185:186]
	v_add_f64 v[80:81], v[191:192], v[80:81]
	v_add_f64 v[78:79], v[78:79], -v[92:93]
	ds_write2_b64 v196, v[64:65], v[100:101] offset1:50
	v_add_f64 v[64:65], v[132:133], v[90:91]
	v_fma_f64 v[94:95], v[84:85], s[6:7], v[136:137]
	v_fma_f64 v[84:85], v[84:85], s[4:5], v[136:137]
	v_add_f64 v[90:91], v[82:83], v[68:69]
	v_fma_f64 v[96:97], v[86:87], s[6:7], v[189:190]
	ds_write_b64 v196, v[88:89] offset:800
	ds_write2_b64 v197, v[64:65], v[94:95] offset1:50
	ds_write_b64 v197, v[84:85] offset:800
	ds_write2_b64 v198, v[80:81], v[96:97] offset1:50
	v_add_f64 v[64:65], v[76:77], v[152:153]
	v_add_f64 v[82:83], v[154:155], v[82:83]
	v_fma_f64 v[88:89], v[90:91], -0.5, v[154:155]
	v_add_f64 v[60:61], v[60:61], -v[70:71]
	v_add_f64 v[72:73], v[72:73], -v[146:147]
	v_add_f64 v[76:77], v[156:157], v[76:77]
	v_add_f64 v[74:75], v[74:75], -v[150:151]
	v_fma_f64 v[86:87], v[86:87], s[4:5], v[189:190]
	v_fma_f64 v[64:65], v[64:65], -0.5, v[156:157]
	v_add_f64 v[68:69], v[82:83], v[68:69]
	v_fma_f64 v[70:71], v[78:79], s[6:7], v[88:89]
	v_fma_f64 v[78:79], v[78:79], s[4:5], v[88:89]
	v_add_f64 v[62:63], v[66:67], v[62:63]
	v_fma_f64 v[66:67], v[60:61], s[6:7], v[134:135]
	v_fma_f64 v[60:61], v[60:61], s[4:5], v[134:135]
	v_add_f64 v[80:81], v[142:143], v[148:149]
	v_fma_f64 v[82:83], v[72:73], s[6:7], v[138:139]
	v_fma_f64 v[72:73], v[72:73], s[4:5], v[138:139]
	v_add_f64 v[76:77], v[76:77], v[152:153]
	v_fma_f64 v[84:85], v[74:75], s[6:7], v[64:65]
	v_fma_f64 v[64:65], v[74:75], s[4:5], v[64:65]
	ds_write_b64 v198, v[86:87] offset:800
	ds_write2_b64 v199, v[68:69], v[70:71] offset1:50
	ds_write_b64 v199, v[78:79] offset:800
	ds_write2_b64 v200, v[62:63], v[66:67] offset1:50
	;; [unrolled: 2-line block ×4, first 2 shown]
	ds_write_b64 v202, v[64:65] offset:800
	v_lshlrev_b32_e32 v80, 1, v120
	v_mov_b32_e32 v81, 0
	v_lshlrev_b64 v[60:61], 4, v[80:81]
	v_mov_b32_e32 v132, s9
	v_add_co_u32_e32 v82, vcc, s8, v60
	v_addc_co_u32_e32 v83, vcc, v132, v61, vcc
	s_waitcnt lgkmcnt(0)
	s_barrier
	global_load_dwordx4 v[64:67], v[82:83], off offset:2240
	v_add_u32_e32 v60, -15, v120
	v_cmp_gt_u32_e32 vcc, 15, v120
	v_cndmask_b32_e32 v60, v60, v175, vcc
	v_lshlrev_b32_e32 v61, 1, v60
	v_mov_b32_e32 v62, v81
	v_lshlrev_b64 v[61:62], 4, v[61:62]
	v_mul_u32_u24_e32 v100, 0xda75, v116
	v_add_co_u32_e32 v61, vcc, s8, v61
	v_addc_co_u32_e32 v62, vcc, v132, v62, vcc
	global_load_dwordx4 v[68:71], v[61:62], off offset:2240
	global_load_dwordx4 v[72:75], v[82:83], off offset:2256
	;; [unrolled: 1-line block ×3, first 2 shown]
	v_mul_u32_u24_e32 v61, 0xda75, v114
	v_lshrrev_b32_e32 v63, 22, v61
	v_mul_lo_u16_e32 v61, 0x96, v63
	v_sub_u16_e32 v133, v178, v61
	v_lshlrev_b32_e32 v92, 5, v133
	global_load_dwordx4 v[84:87], v92, s[8:9] offset:2240
	v_mul_u32_u24_e32 v61, 0xda75, v115
	v_lshrrev_b32_e32 v61, 22, v61
	v_mul_lo_u16_e32 v62, 0x96, v61
	v_sub_u16_e32 v62, v172, v62
	v_lshlrev_b32_e32 v96, 5, v62
	global_load_dwordx4 v[88:91], v96, s[8:9] offset:2240
	s_nop 0
	global_load_dwordx4 v[92:95], v92, s[8:9] offset:2256
	s_nop 0
	global_load_dwordx4 v[96:99], v96, s[8:9] offset:2256
	v_lshrrev_b32_e32 v136, 22, v100
	v_mul_lo_u16_e32 v100, 0x96, v136
	v_sub_u16_e32 v137, v173, v100
	v_lshlrev_b32_e32 v104, 5, v137
	global_load_dwordx4 v[100:103], v104, s[8:9] offset:2240
	v_mul_u32_u24_e32 v105, 0xda75, v117
	v_lshrrev_b32_e32 v135, 22, v105
	v_mul_lo_u16_e32 v105, 0x96, v135
	v_sub_u16_e32 v134, v174, v105
	v_lshlrev_b32_e32 v105, 5, v134
	global_load_dwordx4 v[145:148], v105, s[8:9] offset:2240
	global_load_dwordx4 v[149:152], v104, s[8:9] offset:2256
	;; [unrolled: 1-line block ×3, first 2 shown]
	v_mul_u32_u24_e32 v104, 0xda75, v118
	v_lshrrev_b32_e32 v138, 22, v104
	v_mul_lo_u16_e32 v104, 0x96, v138
	v_sub_u16_e32 v139, v130, v104
	v_lshlrev_b32_e32 v108, 5, v139
	global_load_dwordx4 v[179:182], v108, s[8:9] offset:2240
	v_mul_u32_u24_e32 v104, 0xda75, v119
	v_lshrrev_b32_e32 v143, 22, v104
	v_mul_lo_u16_e32 v104, 0x96, v143
	v_sub_u16_e32 v142, v128, v104
	v_lshlrev_b32_e32 v109, 5, v142
	global_load_dwordx4 v[183:186], v109, s[8:9] offset:2240
	ds_read2_b64 v[104:107], v161 offset0:70 offset1:205
	global_load_dwordx4 v[187:190], v108, s[8:9] offset:2256
	global_load_dwordx4 v[191:194], v109, s[8:9] offset:2256
	v_mul_u32_u24_e32 v108, 0xda75, v124
	v_lshrrev_b32_e32 v141, 22, v108
	v_mul_lo_u16_e32 v108, 0x96, v141
	v_sub_u16_e32 v140, v131, v108
	v_lshlrev_b32_e32 v110, 5, v140
	global_load_dwordx4 v[195:198], v110, s[8:9] offset:2240
	v_mul_u32_u24_e32 v111, 0xda75, v125
	v_lshrrev_b32_e32 v111, 22, v111
	v_mul_lo_u16_e32 v111, 0x96, v111
	v_sub_u16_e32 v144, v129, v111
	v_lshlrev_b32_e32 v111, 5, v144
	global_load_dwordx4 v[199:202], v111, s[8:9] offset:2240
	global_load_dwordx4 v[203:206], v110, s[8:9] offset:2256
	;; [unrolled: 1-line block ×3, first 2 shown]
	ds_read2_b64 v[110:113], v160 offset0:12 offset1:147
	v_cmp_lt_u32_e32 vcc, 14, v120
	v_lshl_add_u32 v144, v144, 3, 0
	s_waitcnt vmcnt(19) lgkmcnt(1)
	v_mul_f64 v[108:109], v[104:105], v[66:67]
	v_mul_f64 v[66:67], v[52:53], v[66:67]
	v_fma_f64 v[157:158], v[52:53], v[64:65], v[108:109]
	v_fma_f64 v[211:212], v[104:105], v[64:65], -v[66:67]
	s_waitcnt vmcnt(18)
	v_mul_f64 v[52:53], v[106:107], v[70:71]
	ds_read2_b64 v[64:67], v163 offset0:84 offset1:219
	s_waitcnt vmcnt(17) lgkmcnt(1)
	v_mul_f64 v[104:105], v[110:111], v[74:75]
	v_mul_f64 v[74:75], v[48:49], v[74:75]
	;; [unrolled: 1-line block ×3, first 2 shown]
	s_waitcnt vmcnt(16)
	v_mul_f64 v[114:115], v[112:113], v[78:79]
	v_mul_f64 v[78:79], v[50:51], v[78:79]
	v_fma_f64 v[108:109], v[54:55], v[68:69], v[52:53]
	s_waitcnt vmcnt(15) lgkmcnt(0)
	v_mul_f64 v[52:53], v[64:65], v[86:87]
	v_mul_f64 v[54:55], v[44:45], v[86:87]
	v_fma_f64 v[217:218], v[110:111], v[72:73], -v[74:75]
	v_fma_f64 v[215:216], v[48:49], v[72:73], v[104:105]
	v_fma_f64 v[118:119], v[50:51], v[76:77], v[114:115]
	ds_read2_b64 v[48:51], v164 offset0:26 offset1:161
	v_fma_f64 v[213:214], v[106:107], v[68:69], -v[70:71]
	v_fma_f64 v[106:107], v[112:113], v[76:77], -v[78:79]
	v_fma_f64 v[110:111], v[44:45], v[84:85], v[52:53]
	s_waitcnt vmcnt(14)
	v_mul_f64 v[44:45], v[66:67], v[90:91]
	v_fma_f64 v[219:220], v[64:65], v[84:85], -v[54:55]
	ds_read2_b64 v[52:55], v167 offset0:98 offset1:233
	v_mul_f64 v[64:65], v[46:47], v[90:91]
	s_waitcnt vmcnt(13) lgkmcnt(1)
	v_mul_f64 v[68:69], v[48:49], v[94:95]
	s_waitcnt vmcnt(12)
	v_mul_f64 v[72:73], v[50:51], v[98:99]
	v_mul_f64 v[70:71], v[40:41], v[94:95]
	;; [unrolled: 1-line block ×3, first 2 shown]
	v_fma_f64 v[112:113], v[46:47], v[88:89], v[44:45]
	s_waitcnt vmcnt(11) lgkmcnt(0)
	v_mul_f64 v[44:45], v[52:53], v[102:103]
	v_mul_f64 v[46:47], v[36:37], v[102:103]
	v_fma_f64 v[221:222], v[66:67], v[88:89], -v[64:65]
	v_fma_f64 v[126:127], v[40:41], v[92:93], v[68:69]
	v_fma_f64 v[124:125], v[42:43], v[96:97], v[72:73]
	ds_read2_b64 v[40:43], v166 offset0:40 offset1:175
	v_fma_f64 v[116:117], v[48:49], v[92:93], -v[70:71]
	s_waitcnt vmcnt(8)
	v_mul_f64 v[72:73], v[34:35], v[155:156]
	v_fma_f64 v[64:65], v[36:37], v[100:101], v[44:45]
	v_mul_f64 v[36:37], v[54:55], v[147:148]
	v_fma_f64 v[48:49], v[52:53], v[100:101], -v[46:47]
	ds_read2_b64 v[44:47], v170 offset0:112 offset1:247
	s_waitcnt lgkmcnt(1)
	v_mul_f64 v[52:53], v[40:41], v[151:152]
	v_mul_f64 v[68:69], v[42:43], v[155:156]
	;; [unrolled: 1-line block ×3, first 2 shown]
	v_fma_f64 v[114:115], v[50:51], v[96:97], -v[74:75]
	v_mul_f64 v[50:51], v[38:39], v[147:148]
	v_fma_f64 v[70:71], v[38:39], v[145:146], v[36:37]
	s_waitcnt vmcnt(7) lgkmcnt(0)
	v_mul_f64 v[36:37], v[44:45], v[181:182]
	v_mul_f64 v[38:39], v[28:29], v[181:182]
	v_fma_f64 v[84:85], v[32:33], v[149:150], v[52:53]
	v_fma_f64 v[86:87], v[34:35], v[153:154], v[68:69]
	ds_read2_b64 v[32:35], v168 offset0:54 offset1:189
	v_fma_f64 v[72:73], v[42:43], v[153:154], -v[72:73]
	v_fma_f64 v[50:51], v[54:55], v[145:146], -v[50:51]
	;; [unrolled: 1-line block ×3, first 2 shown]
	v_fma_f64 v[88:89], v[28:29], v[179:180], v[36:37]
	s_waitcnt vmcnt(6)
	v_mul_f64 v[28:29], v[46:47], v[185:186]
	s_waitcnt vmcnt(5) lgkmcnt(0)
	v_mul_f64 v[42:43], v[32:33], v[189:190]
	s_waitcnt vmcnt(4)
	v_mul_f64 v[52:53], v[34:35], v[193:194]
	v_mul_f64 v[40:41], v[30:31], v[185:186]
	v_fma_f64 v[90:91], v[44:45], v[179:180], -v[38:39]
	v_mul_f64 v[44:45], v[24:25], v[189:190]
	v_mul_f64 v[54:55], v[26:27], v[193:194]
	ds_read2_b64 v[36:39], v169 offset0:62 offset1:197
	v_fma_f64 v[66:67], v[30:31], v[183:184], v[28:29]
	s_waitcnt vmcnt(3)
	v_mul_f64 v[30:31], v[20:21], v[197:198]
	v_fma_f64 v[102:103], v[24:25], v[187:188], v[42:43]
	v_fma_f64 v[76:77], v[26:27], v[191:192], v[52:53]
	ds_read2_b64 v[24:27], v171 offset0:68 offset1:203
	s_waitcnt lgkmcnt(1)
	v_mul_f64 v[28:29], v[36:37], v[197:198]
	v_fma_f64 v[94:95], v[32:33], v[187:188], -v[44:45]
	v_fma_f64 v[68:69], v[34:35], v[191:192], -v[54:55]
	s_waitcnt vmcnt(2)
	v_mul_f64 v[32:33], v[38:39], v[201:202]
	v_fma_f64 v[34:35], v[36:37], v[195:196], -v[30:31]
	s_waitcnt vmcnt(0) lgkmcnt(0)
	v_mul_f64 v[36:37], v[26:27], v[209:210]
	v_add_f64 v[42:43], v[157:158], v[215:216]
	v_mul_f64 v[30:31], v[16:17], v[205:206]
	v_fma_f64 v[78:79], v[20:21], v[195:196], v[28:29]
	v_mul_f64 v[20:21], v[22:23], v[201:202]
	v_mul_f64 v[28:29], v[24:25], v[205:206]
	v_fma_f64 v[92:93], v[22:23], v[199:200], v[32:33]
	v_add_f64 v[32:33], v[12:13], v[157:158]
	v_fma_f64 v[100:101], v[18:19], v[207:208], v[36:37]
	v_fma_f64 v[12:13], v[42:43], -0.5, v[12:13]
	v_add_f64 v[36:37], v[211:212], -v[217:218]
	v_mul_f64 v[22:23], v[18:19], v[209:210]
	v_fma_f64 v[98:99], v[38:39], v[199:200], -v[20:21]
	v_add_f64 v[42:43], v[108:109], v[118:119]
	v_add_f64 v[44:45], v[211:212], v[217:218]
	;; [unrolled: 1-line block ×3, first 2 shown]
	v_fma_f64 v[104:105], v[16:17], v[203:204], v[28:29]
	v_fma_f64 v[96:97], v[24:25], v[203:204], -v[30:31]
	v_fma_f64 v[38:39], v[36:37], s[4:5], v[12:13]
	v_fma_f64 v[145:146], v[26:27], v[207:208], -v[22:23]
	ds_read_b64 v[147:148], v121 offset:6480
	ds_read_b64 v[149:150], v176 offset:9720
	ds_read2_b64 v[16:19], v121 offset1:135
	ds_read2_b64 v[20:23], v162 offset0:14 offset1:149
	ds_read2_b64 v[24:27], v165 offset0:28 offset1:163
	v_fma_f64 v[40:41], v[46:47], v[183:184], -v[40:41]
	ds_read2_b64 v[28:31], v177 offset0:49 offset1:184
	s_waitcnt lgkmcnt(0)
	s_barrier
	v_add_f64 v[46:47], v[213:214], v[106:107]
	ds_write2_b64 v121, v[32:33], v[38:39] offset1:150
	v_fma_f64 v[12:13], v[36:37], s[6:7], v[12:13]
	v_fma_f64 v[32:33], v[42:43], -0.5, v[14:15]
	v_add_f64 v[14:15], v[14:15], v[108:109]
	v_add_f64 v[36:37], v[16:17], v[211:212]
	;; [unrolled: 1-line block ×3, first 2 shown]
	v_fma_f64 v[151:152], v[44:45], -0.5, v[16:17]
	v_add_f64 v[16:17], v[213:214], -v[106:107]
	v_fma_f64 v[153:154], v[46:47], -0.5, v[18:19]
	v_add_f64 v[155:156], v[18:19], v[213:214]
	ds_write_b64 v121, v[12:13] offset:2400
	v_add_f64 v[12:13], v[8:9], v[110:111]
	v_add_f64 v[18:19], v[219:220], -v[116:117]
	v_fma_f64 v[8:9], v[38:39], -0.5, v[8:9]
	v_add_f64 v[14:15], v[14:15], v[118:119]
	v_fma_f64 v[38:39], v[16:17], s[4:5], v[32:33]
	v_mov_b32_e32 v42, 0xe10
	v_fma_f64 v[16:17], v[16:17], s[6:7], v[32:33]
	v_cndmask_b32_e32 v42, 0, v42, vcc
	v_lshlrev_b32_e32 v43, 3, v60
	v_add3_u32 v159, 0, v42, v43
	v_add_f64 v[12:13], v[12:13], v[126:127]
	v_fma_f64 v[32:33], v[18:19], s[4:5], v[8:9]
	ds_write2_b64 v159, v[14:15], v[38:39] offset1:150
	v_add_f64 v[14:15], v[112:113], v[124:125]
	ds_write_b64 v159, v[16:17] offset:2400
	v_mul_u32_u24_e32 v16, 0xe10, v63
	v_lshlrev_b32_e32 v17, 3, v133
	v_add3_u32 v193, 0, v16, v17
	v_add_f64 v[16:17], v[221:222], v[114:115]
	ds_write2_b64 v193, v[12:13], v[32:33] offset1:150
	v_add_f64 v[12:13], v[219:220], v[116:117]
	v_fma_f64 v[14:15], v[14:15], -0.5, v[10:11]
	v_add_f64 v[10:11], v[10:11], v[112:113]
	v_add_f64 v[32:33], v[221:222], -v[114:115]
	v_fma_f64 v[8:9], v[18:19], s[6:7], v[8:9]
	v_add_f64 v[18:19], v[64:65], v[84:85]
	v_fma_f64 v[183:184], v[16:17], -0.5, v[22:23]
	v_add_f64 v[16:17], v[4:5], v[64:65]
	v_fma_f64 v[181:182], v[12:13], -0.5, v[20:21]
	v_add_f64 v[179:180], v[20:21], v[219:220]
	v_add_f64 v[10:11], v[10:11], v[124:125]
	v_fma_f64 v[12:13], v[32:33], s[4:5], v[14:15]
	v_fma_f64 v[14:15], v[32:33], s[6:7], v[14:15]
	v_fma_f64 v[4:5], v[18:19], -0.5, v[4:5]
	v_add_f64 v[18:19], v[48:49], -v[74:75]
	ds_write_b64 v193, v[8:9] offset:2400
	v_mul_u32_u24_e32 v8, 0xe10, v61
	v_lshlrev_b32_e32 v9, 3, v62
	v_add3_u32 v194, 0, v8, v9
	ds_write2_b64 v194, v[10:11], v[12:13] offset1:150
	v_add_f64 v[8:9], v[16:17], v[84:85]
	v_add_f64 v[12:13], v[70:71], v[86:87]
	v_fma_f64 v[10:11], v[18:19], s[4:5], v[4:5]
	ds_write_b64 v194, v[14:15] offset:2400
	v_mul_u32_u24_e32 v14, 0xe10, v136
	v_lshlrev_b32_e32 v15, 3, v137
	v_add3_u32 v195, 0, v14, v15
	v_add_f64 v[16:17], v[50:51], v[72:73]
	v_fma_f64 v[4:5], v[18:19], s[6:7], v[4:5]
	v_add_f64 v[14:15], v[48:49], v[74:75]
	ds_write2_b64 v195, v[8:9], v[10:11] offset1:150
	v_fma_f64 v[8:9], v[12:13], -0.5, v[6:7]
	v_add_f64 v[6:7], v[6:7], v[70:71]
	v_add_f64 v[10:11], v[50:51], -v[72:73]
	v_add_f64 v[12:13], v[88:89], v[102:103]
	v_fma_f64 v[189:190], v[16:17], -0.5, v[26:27]
	ds_write_b64 v195, v[4:5] offset:2400
	v_add_f64 v[16:17], v[66:67], v[76:77]
	v_fma_f64 v[187:188], v[14:15], -0.5, v[24:25]
	v_mul_u32_u24_e32 v20, 0xe10, v135
	v_add_f64 v[4:5], v[6:7], v[86:87]
	v_fma_f64 v[6:7], v[10:11], s[4:5], v[8:9]
	v_add_f64 v[14:15], v[58:59], v[88:89]
	v_lshlrev_b32_e32 v21, 3, v134
	v_fma_f64 v[12:13], v[12:13], -0.5, v[58:59]
	v_add_f64 v[18:19], v[90:91], -v[94:95]
	v_add3_u32 v135, 0, v20, v21
	v_fma_f64 v[8:9], v[10:11], s[6:7], v[8:9]
	v_add_f64 v[10:11], v[40:41], -v[68:69]
	ds_write2_b64 v135, v[4:5], v[6:7] offset1:150
	v_add_f64 v[6:7], v[0:1], v[66:67]
	v_fma_f64 v[0:1], v[16:17], -0.5, v[0:1]
	v_add_f64 v[4:5], v[14:15], v[102:103]
	v_fma_f64 v[14:15], v[18:19], s[4:5], v[12:13]
	v_fma_f64 v[12:13], v[18:19], s[6:7], v[12:13]
	ds_write_b64 v135, v[8:9] offset:2400
	v_mul_u32_u24_e32 v8, 0xe10, v138
	v_lshlrev_b32_e32 v9, 3, v139
	v_add3_u32 v196, 0, v8, v9
	v_add_f64 v[6:7], v[6:7], v[76:77]
	v_fma_f64 v[8:9], v[10:11], s[4:5], v[0:1]
	ds_write2_b64 v196, v[4:5], v[14:15] offset1:150
	ds_write_b64 v196, v[12:13] offset:2400
	v_mul_u32_u24_e32 v12, 0xe10, v143
	v_lshlrev_b32_e32 v13, 3, v142
	v_add3_u32 v197, 0, v12, v13
	v_add_f64 v[4:5], v[78:79], v[104:105]
	v_add_f64 v[12:13], v[40:41], v[68:69]
	v_fma_f64 v[0:1], v[10:11], s[6:7], v[0:1]
	ds_write2_b64 v197, v[6:7], v[8:9] offset1:150
	v_add_f64 v[6:7], v[34:35], v[96:97]
	v_add_f64 v[8:9], v[92:93], v[100:101]
	v_add_f64 v[10:11], v[34:35], -v[96:97]
	v_add_f64 v[142:143], v[157:158], -v[215:216]
	v_fma_f64 v[4:5], v[4:5], -0.5, v[2:3]
	v_add_f64 v[2:3], v[2:3], v[78:79]
	v_fma_f64 v[133:134], v[12:13], -0.5, v[28:29]
	v_add_f64 v[12:13], v[98:99], -v[145:146]
	v_fma_f64 v[138:139], v[6:7], -0.5, v[30:31]
	v_fma_f64 v[6:7], v[8:9], -0.5, v[56:57]
	v_add_f64 v[8:9], v[56:57], v[92:93]
	v_add_f64 v[108:109], v[108:109], -v[118:119]
	ds_write_b64 v197, v[0:1] offset:2400
	v_add_f64 v[0:1], v[2:3], v[104:105]
	v_fma_f64 v[2:3], v[10:11], s[4:5], v[4:5]
	v_fma_f64 v[4:5], v[10:11], s[6:7], v[4:5]
	v_mul_u32_u24_e32 v14, 0xe10, v141
	v_fma_f64 v[10:11], v[12:13], s[4:5], v[6:7]
	v_add_f64 v[8:9], v[8:9], v[100:101]
	v_lshlrev_b32_e32 v15, 3, v140
	v_fma_f64 v[6:7], v[12:13], s[6:7], v[6:7]
	v_add_f64 v[140:141], v[36:37], v[217:218]
	v_fma_f64 v[157:158], v[142:143], s[6:7], v[151:152]
	v_fma_f64 v[118:119], v[142:143], s[4:5], v[151:152]
	v_add_f64 v[112:113], v[112:113], -v[124:125]
	v_add_f64 v[106:107], v[155:156], v[106:107]
	v_fma_f64 v[124:125], v[108:109], s[6:7], v[153:154]
	v_add_f64 v[185:186], v[22:23], v[221:222]
	v_add_f64 v[110:111], v[110:111], -v[126:127]
	v_fma_f64 v[108:109], v[108:109], s[4:5], v[153:154]
	v_add_f64 v[136:137], v[24:25], v[48:49]
	v_add_f64 v[64:65], v[64:65], -v[84:85]
	v_add3_u32 v198, 0, v14, v15
	v_add_u32_e32 v199, 0x7000, v144
	v_add_f64 v[191:192], v[26:27], v[50:51]
	v_add_f64 v[58:59], v[28:29], v[40:41]
	;; [unrolled: 1-line block ×3, first 2 shown]
	ds_write2_b64 v198, v[0:1], v[2:3] offset1:150
	ds_write_b64 v198, v[4:5] offset:2400
	ds_write2_b64 v199, v[8:9], v[10:11] offset0:16 offset1:166
	ds_write_b64 v144, v[6:7] offset:31200
	s_waitcnt lgkmcnt(0)
	s_barrier
	ds_read_b64 v[62:63], v121 offset:6480
	ds_read_b64 v[60:61], v176 offset:9720
	ds_read2_b64 v[12:15], v121 offset1:135
	ds_read2_b64 v[52:55], v161 offset0:70 offset1:205
	ds_read2_b64 v[48:51], v160 offset0:12 offset1:147
	;; [unrolled: 1-line block ×13, first 2 shown]
	s_waitcnt lgkmcnt(0)
	s_barrier
	ds_write2_b64 v121, v[140:141], v[157:158] offset1:150
	ds_write_b64 v121, v[118:119] offset:2400
	ds_write2_b64 v159, v[106:107], v[124:125] offset1:150
	ds_write_b64 v159, v[108:109] offset:2400
	v_add_f64 v[106:107], v[90:91], v[94:95]
	v_add_f64 v[70:71], v[70:71], -v[86:87]
	v_add_f64 v[116:117], v[179:180], v[116:117]
	v_fma_f64 v[126:127], v[110:111], s[6:7], v[181:182]
	v_add_f64 v[114:115], v[185:186], v[114:115]
	v_fma_f64 v[140:141], v[112:113], s[6:7], v[183:184]
	v_fma_f64 v[84:85], v[112:113], s[4:5], v[183:184]
	;; [unrolled: 1-line block ×3, first 2 shown]
	v_add_f64 v[88:89], v[88:89], -v[102:103]
	v_add_f64 v[74:75], v[136:137], v[74:75]
	v_fma_f64 v[102:103], v[64:65], s[6:7], v[187:188]
	v_fma_f64 v[64:65], v[64:65], s[4:5], v[187:188]
	v_add_f64 v[86:87], v[147:148], v[90:91]
	v_fma_f64 v[90:91], v[106:107], -0.5, v[147:148]
	v_add_f64 v[72:73], v[191:192], v[72:73]
	v_fma_f64 v[106:107], v[70:71], s[6:7], v[189:190]
	v_fma_f64 v[70:71], v[70:71], s[4:5], v[189:190]
	ds_write2_b64 v193, v[116:117], v[126:127] offset1:150
	ds_write_b64 v193, v[110:111] offset:2400
	ds_write2_b64 v194, v[114:115], v[140:141] offset1:150
	ds_write_b64 v194, v[84:85] offset:2400
	;; [unrolled: 2-line block ×3, first 2 shown]
	v_add_f64 v[64:65], v[98:99], v[145:146]
	v_add_f64 v[66:67], v[66:67], -v[76:77]
	ds_write2_b64 v135, v[72:73], v[106:107] offset1:150
	ds_write_b64 v135, v[70:71] offset:2400
	v_add_f64 v[72:73], v[78:79], -v[104:105]
	v_add_f64 v[74:75], v[149:150], v[98:99]
	v_add_f64 v[76:77], v[92:93], -v[100:101]
	v_add_f64 v[86:87], v[86:87], v[94:95]
	v_fma_f64 v[64:65], v[64:65], -0.5, v[149:150]
	v_fma_f64 v[94:95], v[88:89], s[6:7], v[90:91]
	v_fma_f64 v[70:71], v[88:89], s[4:5], v[90:91]
	v_add_f64 v[58:59], v[58:59], v[68:69]
	v_fma_f64 v[68:69], v[66:67], s[6:7], v[133:134]
	v_fma_f64 v[66:67], v[66:67], s[4:5], v[133:134]
	v_add_f64 v[56:57], v[56:57], v[96:97]
	;; [unrolled: 3-line block ×3, first 2 shown]
	v_fma_f64 v[84:85], v[76:77], s[6:7], v[64:65]
	v_fma_f64 v[64:65], v[76:77], s[4:5], v[64:65]
	ds_write2_b64 v196, v[86:87], v[94:95] offset1:150
	ds_write_b64 v196, v[70:71] offset:2400
	ds_write2_b64 v197, v[58:59], v[68:69] offset1:150
	ds_write_b64 v197, v[66:67] offset:2400
	;; [unrolled: 2-line block ×3, first 2 shown]
	ds_write2_b64 v199, v[74:75], v[84:85] offset0:16 offset1:166
	ds_write_b64 v144, v[64:65] offset:31200
	v_add_co_u32_e32 v56, vcc, s10, v82
	v_addc_co_u32_e32 v57, vcc, 0, v83, vcc
	s_waitcnt lgkmcnt(0)
	s_barrier
	global_load_dwordx4 v[56:59], v[56:57], off offset:2944
	v_lshlrev_b32_e32 v64, 1, v175
	v_mov_b32_e32 v65, v81
	v_lshlrev_b64 v[64:65], 4, v[64:65]
	ds_read2_b64 v[70:73], v161 offset0:70 offset1:205
	v_add_co_u32_e32 v86, vcc, s8, v64
	v_addc_co_u32_e32 v87, vcc, v132, v65, vcc
	v_add_co_u32_e32 v64, vcc, s10, v86
	v_addc_co_u32_e32 v65, vcc, 0, v87, vcc
	global_load_dwordx4 v[66:69], v[64:65], off offset:2944
	v_add_co_u32_e32 v64, vcc, s11, v82
	v_addc_co_u32_e32 v65, vcc, 0, v83, vcc
	global_load_dwordx4 v[74:77], v[64:65], off offset:16
	v_mov_b32_e32 v95, v81
	v_mul_u32_u24_sdwa v157, v129, s13 dst_sel:DWORD dst_unused:UNUSED_PAD src0_sel:WORD_0 src1_sel:DWORD
	v_mul_lo_u16_sdwa v157, v157, s12 dst_sel:DWORD dst_unused:UNUSED_PAD src0_sel:BYTE_3 src1_sel:DWORD
	v_sub_u16_e32 v196, v129, v157
	v_lshlrev_b32_e32 v157, 5, v196
	v_add_u32_e32 v198, 0x3800, v176
	v_add_u32_e32 v199, 0x4800, v176
	v_lshl_add_u32 v202, v196, 3, 0
	s_waitcnt vmcnt(2) lgkmcnt(0)
	v_mul_f64 v[78:79], v[70:71], v[58:59]
	v_mul_f64 v[84:85], v[52:53], v[58:59]
	v_add_co_u32_e32 v58, vcc, s11, v86
	v_addc_co_u32_e32 v59, vcc, 0, v87, vcc
	global_load_dwordx4 v[90:93], v[58:59], off offset:16
	v_lshlrev_b32_e32 v58, 1, v178
	v_mov_b32_e32 v59, v81
	v_lshlrev_b64 v[58:59], 4, v[58:59]
	v_fma_f64 v[78:79], v[52:53], v[56:57], v[78:79]
	v_add_co_u32_e32 v88, vcc, s8, v58
	v_addc_co_u32_e32 v89, vcc, v132, v59, vcc
	v_add_co_u32_e32 v64, vcc, s10, v88
	v_addc_co_u32_e32 v65, vcc, 0, v89, vcc
	v_subrev_u32_e32 v58, 45, v120
	v_cmp_gt_u32_e32 vcc, 45, v120
	v_cndmask_b32_e32 v58, v58, v172, vcc
	v_lshlrev_b32_e32 v94, 1, v58
	v_lshlrev_b64 v[94:95], 4, v[94:95]
	s_waitcnt vmcnt(2)
	v_mul_f64 v[118:119], v[72:73], v[68:69]
	v_add_co_u32_e32 v59, vcc, s8, v94
	v_addc_co_u32_e32 v104, vcc, v132, v95, vcc
	v_add_co_u32_e32 v102, vcc, s10, v59
	v_addc_co_u32_e32 v103, vcc, 0, v104, vcc
	;; [unrolled: 2-line block ×3, first 2 shown]
	global_load_dwordx4 v[94:97], v[64:65], off offset:2944
	s_nop 0
	global_load_dwordx4 v[98:101], v[98:99], off offset:16
	v_add_co_u32_e32 v64, vcc, s11, v59
	v_addc_co_u32_e32 v65, vcc, 0, v104, vcc
	global_load_dwordx4 v[102:105], v[102:103], off offset:2944
	s_nop 0
	global_load_dwordx4 v[106:109], v[64:65], off offset:16
	v_add_u32_e32 v64, 0xb4, v80
	v_mov_b32_e32 v65, v81
	v_lshlrev_b64 v[64:65], 4, v[64:65]
	v_add_u32_e32 v80, 0x1c2, v80
	v_add_co_u32_e32 v59, vcc, s8, v64
	v_addc_co_u32_e32 v112, vcc, v132, v65, vcc
	v_add_co_u32_e32 v64, vcc, s10, v59
	v_lshlrev_b64 v[110:111], 4, v[80:81]
	v_addc_co_u32_e32 v65, vcc, 0, v112, vcc
	v_add_co_u32_e32 v80, vcc, s8, v110
	v_addc_co_u32_e32 v126, vcc, v132, v111, vcc
	v_add_co_u32_e32 v124, vcc, s10, v80
	;; [unrolled: 2-line block ×3, first 2 shown]
	v_addc_co_u32_e32 v115, vcc, 0, v112, vcc
	global_load_dwordx4 v[110:113], v[64:65], off offset:2944
	s_nop 0
	global_load_dwordx4 v[114:117], v[114:115], off offset:16
	v_add_co_u32_e32 v64, vcc, s11, v80
	v_mul_u32_u24_sdwa v59, v130, s13 dst_sel:DWORD dst_unused:UNUSED_PAD src0_sel:WORD_0 src1_sel:DWORD
	v_addc_co_u32_e32 v65, vcc, 0, v126, vcc
	global_load_dwordx4 v[124:127], v[124:125], off offset:2944
	s_nop 0
	global_load_dwordx4 v[133:136], v[64:65], off offset:16
	v_mul_lo_u16_sdwa v64, v59, s12 dst_sel:DWORD dst_unused:UNUSED_PAD src0_sel:BYTE_3 src1_sel:DWORD
	v_sub_u16_e32 v64, v130, v64
	v_lshlrev_b32_e32 v65, 5, v64
	v_add_co_u32_e32 v80, vcc, s8, v65
	v_mul_u32_u24_sdwa v65, v128, s13 dst_sel:DWORD dst_unused:UNUSED_PAD src0_sel:WORD_0 src1_sel:DWORD
	v_addc_co_u32_e32 v139, vcc, 0, v132, vcc
	v_mul_lo_u16_sdwa v65, v65, s12 dst_sel:DWORD dst_unused:UNUSED_PAD src0_sel:BYTE_3 src1_sel:DWORD
	v_add_co_u32_e32 v137, vcc, s10, v80
	v_sub_u16_e32 v65, v128, v65
	v_addc_co_u32_e32 v138, vcc, 0, v139, vcc
	v_lshlrev_b32_e32 v140, 5, v65
	v_add_co_u32_e32 v147, vcc, s8, v140
	v_addc_co_u32_e32 v148, vcc, 0, v132, vcc
	v_add_co_u32_e32 v145, vcc, s10, v147
	v_addc_co_u32_e32 v146, vcc, 0, v148, vcc
	;; [unrolled: 2-line block ×4, first 2 shown]
	global_load_dwordx4 v[137:140], v[137:138], off offset:2944
	s_nop 0
	global_load_dwordx4 v[141:144], v[141:142], off offset:16
	s_nop 0
	;; [unrolled: 2-line block ×3, first 2 shown]
	global_load_dwordx4 v[149:152], v[149:150], off offset:16
	v_mul_u32_u24_sdwa v80, v131, s13 dst_sel:DWORD dst_unused:UNUSED_PAD src0_sel:WORD_0 src1_sel:DWORD
	v_mul_lo_u16_sdwa v80, v80, s12 dst_sel:DWORD dst_unused:UNUSED_PAD src0_sel:BYTE_3 src1_sel:DWORD
	v_sub_u16_e32 v80, v131, v80
	v_lshlrev_b32_e32 v153, 5, v80
	v_add_co_u32_e32 v159, vcc, s8, v153
	v_addc_co_u32_e32 v175, vcc, 0, v132, vcc
	v_add_co_u32_e32 v153, vcc, s10, v159
	v_addc_co_u32_e32 v154, vcc, 0, v175, vcc
	;; [unrolled: 2-line block ×4, first 2 shown]
	global_load_dwordx4 v[153:156], v[153:154], off offset:2944
	v_mul_f64 v[68:69], v[54:55], v[68:69]
	global_load_dwordx4 v[178:181], v[157:158], off offset:2944
	v_add_co_u32_e32 v157, vcc, s11, v159
	v_addc_co_u32_e32 v158, vcc, 0, v175, vcc
	global_load_dwordx4 v[186:189], v[157:158], off offset:16
	v_add_co_u32_e32 v157, vcc, s11, v190
	v_addc_co_u32_e32 v158, vcc, 0, v132, vcc
	global_load_dwordx4 v[190:193], v[157:158], off offset:16
	ds_read2_b64 v[182:185], v160 offset0:12 offset1:147
	v_fma_f64 v[70:71], v[70:71], v[56:57], -v[84:85]
	s_waitcnt vmcnt(17)
	v_mul_f64 v[56:57], v[48:49], v[76:77]
	v_fma_f64 v[84:85], v[54:55], v[66:67], v[118:119]
	v_fma_f64 v[118:119], v[72:73], v[66:67], -v[68:69]
	s_waitcnt lgkmcnt(0)
	v_mul_f64 v[157:158], v[182:183], v[76:77]
	ds_read2_b64 v[52:55], v163 offset0:84 offset1:219
	ds_read2_b64 v[66:69], v164 offset0:26 offset1:161
	s_waitcnt vmcnt(16)
	v_mul_f64 v[76:77], v[50:51], v[92:93]
	v_cmp_lt_u32_e32 vcc, 44, v120
	v_fma_f64 v[182:183], v[182:183], v[74:75], -v[56:57]
	v_add_u32_e32 v175, 0x2c00, v176
	s_waitcnt vmcnt(14) lgkmcnt(0)
	v_mul_f64 v[56:57], v[66:67], v[100:101]
	v_fma_f64 v[72:73], v[48:49], v[74:75], v[157:158]
	v_mul_f64 v[48:49], v[184:185], v[92:93]
	v_mul_f64 v[92:93], v[52:53], v[96:97]
	;; [unrolled: 1-line block ×3, first 2 shown]
	s_waitcnt vmcnt(13)
	v_mul_f64 v[157:158], v[54:55], v[104:105]
	v_mul_f64 v[104:105], v[46:47], v[104:105]
	v_fma_f64 v[184:185], v[184:185], v[90:91], -v[76:77]
	s_waitcnt vmcnt(11)
	v_mul_f64 v[76:77], v[36:37], v[112:113]
	s_movk_i32 s11, 0x2a30
	v_fma_f64 v[74:75], v[50:51], v[90:91], v[48:49]
	v_fma_f64 v[194:195], v[44:45], v[94:95], v[92:93]
	v_fma_f64 v[94:95], v[52:53], v[94:95], -v[96:97]
	v_fma_f64 v[96:97], v[46:47], v[102:103], v[157:158]
	v_fma_f64 v[102:103], v[54:55], v[102:103], -v[104:105]
	v_fma_f64 v[104:105], v[40:41], v[98:99], v[56:57]
	v_mul_f64 v[40:41], v[40:41], v[100:101]
	ds_read2_b64 v[44:47], v167 offset0:98 offset1:233
	ds_read2_b64 v[48:51], v166 offset0:40 offset1:175
	v_mul_f64 v[52:53], v[68:69], v[108:109]
	v_mul_f64 v[54:55], v[42:43], v[108:109]
	s_waitcnt vmcnt(9)
	v_mul_f64 v[92:93], v[38:39], v[126:127]
	s_waitcnt lgkmcnt(1)
	v_mul_f64 v[56:57], v[44:45], v[112:113]
	v_mul_f64 v[90:91], v[46:47], v[126:127]
	v_fma_f64 v[98:99], v[66:67], v[98:99], -v[40:41]
	s_waitcnt lgkmcnt(0)
	v_mul_f64 v[40:41], v[48:49], v[116:117]
	v_lshl_add_u32 v201, v65, 3, 0
	v_fma_f64 v[100:101], v[42:43], v[106:107], v[52:53]
	v_fma_f64 v[106:107], v[68:69], v[106:107], -v[54:55]
	v_lshl_add_u32 v80, v80, 3, 0
	v_fma_f64 v[108:109], v[36:37], v[110:111], v[56:57]
	v_fma_f64 v[112:113], v[38:39], v[124:125], v[90:91]
	ds_read2_b64 v[36:39], v170 offset0:112 offset1:247
	v_fma_f64 v[126:127], v[32:33], v[114:115], v[40:41]
	v_mul_f64 v[32:33], v[32:33], v[116:117]
	v_fma_f64 v[110:111], v[44:45], v[110:111], -v[76:77]
	v_fma_f64 v[124:125], v[46:47], v[124:125], -v[92:93]
	s_waitcnt vmcnt(8)
	v_mul_f64 v[44:45], v[50:51], v[135:136]
	v_mul_f64 v[46:47], v[34:35], v[135:136]
	s_waitcnt vmcnt(7) lgkmcnt(0)
	v_mul_f64 v[52:53], v[36:37], v[139:140]
	v_mul_f64 v[54:55], v[28:29], v[139:140]
	s_waitcnt vmcnt(5)
	v_mul_f64 v[56:57], v[38:39], v[147:148]
	ds_read2_b64 v[40:43], v168 offset0:54 offset1:189
	v_mul_f64 v[66:67], v[30:31], v[147:148]
	v_fma_f64 v[114:115], v[48:49], v[114:115], -v[32:33]
	v_fma_f64 v[116:117], v[34:35], v[133:134], v[44:45]
	v_fma_f64 v[132:133], v[50:51], v[133:134], -v[46:47]
	s_waitcnt lgkmcnt(0)
	v_mul_f64 v[32:33], v[40:41], v[143:144]
	v_fma_f64 v[134:135], v[28:29], v[137:138], v[52:53]
	v_fma_f64 v[136:137], v[36:37], v[137:138], -v[54:55]
	v_fma_f64 v[44:45], v[30:31], v[145:146], v[56:57]
	ds_read2_b64 v[28:31], v169 offset0:62 offset1:197
	s_waitcnt vmcnt(4)
	v_mul_f64 v[36:37], v[42:43], v[151:152]
	v_fma_f64 v[138:139], v[38:39], v[145:146], -v[66:67]
	v_mul_f64 v[34:35], v[20:21], v[143:144]
	v_mul_f64 v[38:39], v[22:23], v[151:152]
	v_fma_f64 v[143:144], v[20:21], v[141:142], v[32:33]
	s_waitcnt vmcnt(3) lgkmcnt(0)
	v_mul_f64 v[32:33], v[28:29], v[155:156]
	v_mul_f64 v[48:49], v[24:25], v[155:156]
	s_waitcnt vmcnt(2)
	v_mul_f64 v[50:51], v[30:31], v[180:181]
	v_mul_f64 v[52:53], v[26:27], v[180:181]
	v_fma_f64 v[145:146], v[22:23], v[149:150], v[36:37]
	ds_read2_b64 v[20:23], v171 offset0:68 offset1:203
	v_fma_f64 v[46:47], v[42:43], v[149:150], -v[38:39]
	v_add_f64 v[36:37], v[12:13], v[78:79]
	v_fma_f64 v[147:148], v[24:25], v[153:154], v[32:33]
	v_fma_f64 v[149:150], v[28:29], v[153:154], -v[48:49]
	v_fma_f64 v[151:152], v[26:27], v[178:179], v[50:51]
	s_waitcnt vmcnt(1) lgkmcnt(0)
	v_mul_f64 v[24:25], v[20:21], v[188:189]
	v_mul_f64 v[26:27], v[16:17], v[188:189]
	s_waitcnt vmcnt(0)
	v_mul_f64 v[28:29], v[22:23], v[192:193]
	v_add_f64 v[38:39], v[14:15], v[84:85]
	v_fma_f64 v[140:141], v[40:41], v[141:142], -v[34:35]
	v_fma_f64 v[153:154], v[30:31], v[178:179], -v[52:53]
	v_mul_f64 v[30:31], v[18:19], v[192:193]
	v_add_f64 v[32:33], v[78:79], v[72:73]
	v_add_f64 v[34:35], v[84:85], v[74:75]
	v_fma_f64 v[155:156], v[16:17], v[186:187], v[24:25]
	v_fma_f64 v[157:158], v[20:21], v[186:187], -v[26:27]
	v_fma_f64 v[178:179], v[18:19], v[190:191], v[28:29]
	v_add_f64 v[16:17], v[36:37], v[72:73]
	v_add_f64 v[18:19], v[38:39], v[74:75]
	;; [unrolled: 1-line block ×3, first 2 shown]
	v_fma_f64 v[180:181], v[22:23], v[190:191], -v[30:31]
	v_fma_f64 v[12:13], v[32:33], -0.5, v[12:13]
	v_fma_f64 v[14:15], v[34:35], -0.5, v[14:15]
	v_add_f64 v[22:23], v[70:71], -v[182:183]
	v_add_f64 v[24:25], v[118:119], -v[184:185]
	ds_read_b64 v[186:187], v121 offset:6480
	ds_read_b64 v[188:189], v176 offset:9720
	ds_read2_b64 v[50:53], v121 offset1:135
	ds_read2_b64 v[54:57], v162 offset0:14 offset1:149
	ds_read2_b64 v[66:69], v165 offset0:28 offset1:163
	;; [unrolled: 1-line block ×3, first 2 shown]
	s_waitcnt lgkmcnt(0)
	s_barrier
	v_add_f64 v[26:27], v[8:9], v[194:195]
	v_fma_f64 v[8:9], v[20:21], -0.5, v[8:9]
	v_add_f64 v[20:21], v[94:95], -v[98:99]
	ds_write2_b64 v121, v[16:17], v[18:19] offset1:135
	v_add_f64 v[16:17], v[96:97], v[100:101]
	v_fma_f64 v[18:19], v[22:23], s[6:7], v[12:13]
	v_fma_f64 v[28:29], v[24:25], s[6:7], v[14:15]
	;; [unrolled: 1-line block ×3, first 2 shown]
	v_add_f64 v[22:23], v[26:27], v[104:105]
	v_fma_f64 v[14:15], v[24:25], s[4:5], v[14:15]
	v_fma_f64 v[24:25], v[20:21], s[4:5], v[8:9]
	v_add_u32_e32 v142, 0x1c00, v121
	v_fma_f64 v[16:17], v[16:17], -0.5, v[10:11]
	v_fma_f64 v[8:9], v[20:21], s[6:7], v[8:9]
	v_add_f64 v[10:11], v[10:11], v[96:97]
	v_add_f64 v[26:27], v[102:103], -v[106:107]
	ds_write2_b64 v142, v[18:19], v[28:29] offset0:4 offset1:139
	v_add_f64 v[18:19], v[108:109], v[126:127]
	v_add_f64 v[28:29], v[112:113], v[116:117]
	ds_write2_b64 v162, v[22:23], v[12:13] offset0:14 offset1:194
	ds_write2_b64 v165, v[14:15], v[24:25] offset0:73 offset1:208
	v_add_f64 v[20:21], v[124:125], -v[132:133]
	ds_write_b64 v121, v[8:9] offset:9360
	v_add_f64 v[8:9], v[10:11], v[100:101]
	v_mov_b32_e32 v10, 0x2a30
	v_fma_f64 v[12:13], v[26:27], s[4:5], v[16:17]
	v_fma_f64 v[14:15], v[26:27], s[6:7], v[16:17]
	v_fma_f64 v[16:17], v[18:19], -0.5, v[4:5]
	v_fma_f64 v[18:19], v[28:29], -0.5, v[6:7]
	v_add_f64 v[4:5], v[4:5], v[108:109]
	v_add_f64 v[6:7], v[6:7], v[112:113]
	v_cndmask_b32_e32 v22, 0, v10, vcc
	v_add_f64 v[10:11], v[110:111], -v[114:115]
	v_lshlrev_b32_e32 v23, 3, v58
	v_add3_u32 v159, 0, v22, v23
	ds_write_b64 v159, v[8:9]
	ds_write_b64 v159, v[12:13] offset:3600
	v_fma_f64 v[12:13], v[20:21], s[4:5], v[18:19]
	v_add_f64 v[4:5], v[4:5], v[126:127]
	v_add_f64 v[6:7], v[6:7], v[116:117]
	ds_write_b64 v159, v[14:15] offset:7200
	v_fma_f64 v[8:9], v[10:11], s[4:5], v[16:17]
	v_add_f64 v[14:15], v[134:135], v[143:144]
	v_fma_f64 v[10:11], v[10:11], s[6:7], v[16:17]
	v_fma_f64 v[16:17], v[20:21], s[6:7], v[18:19]
	v_add_f64 v[18:19], v[62:63], v[134:135]
	v_add_f64 v[20:21], v[153:154], -v[180:181]
	ds_write2_b64 v175, v[4:5], v[6:7] offset0:32 offset1:167
	v_add_f64 v[4:5], v[44:45], v[145:146]
	ds_write2_b64 v198, v[8:9], v[12:13] offset0:98 offset1:233
	v_fma_f64 v[6:7], v[14:15], -0.5, v[62:63]
	v_add_f64 v[8:9], v[136:137], -v[140:141]
	ds_write2_b64 v199, v[10:11], v[16:17] offset0:36 offset1:171
	v_add_f64 v[10:11], v[147:148], v[155:156]
	v_add_f64 v[12:13], v[151:152], v[178:179]
	v_add_f64 v[14:15], v[138:139], -v[46:47]
	v_fma_f64 v[4:5], v[4:5], -0.5, v[0:1]
	v_add_f64 v[0:1], v[0:1], v[44:45]
	v_add_f64 v[196:197], v[94:95], v[98:99]
	v_fma_f64 v[16:17], v[8:9], s[4:5], v[6:7]
	v_fma_f64 v[6:7], v[8:9], s[6:7], v[6:7]
	v_fma_f64 v[8:9], v[10:11], -0.5, v[2:3]
	v_add_f64 v[10:11], v[149:150], -v[157:158]
	v_add_f64 v[2:3], v[2:3], v[147:148]
	v_fma_f64 v[12:13], v[12:13], -0.5, v[60:61]
	v_fma_f64 v[22:23], v[14:15], s[4:5], v[4:5]
	v_fma_f64 v[4:5], v[14:15], s[6:7], v[4:5]
	v_add_f64 v[0:1], v[0:1], v[145:146]
	v_add_f64 v[190:191], v[78:79], -v[72:73]
	v_add_f64 v[192:193], v[84:85], -v[74:75]
	v_fma_f64 v[14:15], v[10:11], s[4:5], v[8:9]
	v_fma_f64 v[8:9], v[10:11], s[6:7], v[8:9]
	v_add_f64 v[10:11], v[18:19], v[143:144]
	v_add_f64 v[2:3], v[2:3], v[155:156]
	v_fma_f64 v[18:19], v[20:21], s[4:5], v[12:13]
	v_fma_f64 v[12:13], v[20:21], s[6:7], v[12:13]
	v_mul_u32_u24_sdwa v20, v59, s11 dst_sel:DWORD dst_unused:UNUSED_PAD src0_sel:BYTE_3 src1_sel:DWORD
	v_lshlrev_b32_e32 v21, 3, v64
	v_add3_u32 v200, 0, v20, v21
	ds_write_b64 v200, v[16:17] offset:3600
	ds_write_b64 v200, v[10:11]
	ds_write_b64 v200, v[6:7] offset:7200
	ds_write_b64 v201, v[0:1] offset:21600
	;; [unrolled: 1-line block ×5, first 2 shown]
	v_add_f64 v[2:3], v[70:71], v[182:183]
	v_add_f64 v[4:5], v[118:119], v[184:185]
	;; [unrolled: 1-line block ×4, first 2 shown]
	v_fma_f64 v[54:55], v[196:197], -0.5, v[54:55]
	v_add_f64 v[104:105], v[194:195], -v[104:105]
	v_add_f64 v[194:195], v[102:103], v[106:107]
	ds_write_b64 v80, v[14:15] offset:25200
	ds_write_b64 v80, v[8:9] offset:28800
	v_fma_f64 v[58:59], v[2:3], -0.5, v[50:51]
	v_fma_f64 v[64:65], v[4:5], -0.5, v[52:53]
	v_add_f64 v[50:51], v[50:51], v[70:71]
	v_add_f64 v[52:53], v[52:53], v[118:119]
	;; [unrolled: 1-line block ×4, first 2 shown]
	v_fma_f64 v[98:99], v[104:105], s[6:7], v[54:55]
	ds_write_b64 v202, v[0:1] offset:21600
	ds_write_b64 v202, v[18:19] offset:25200
	;; [unrolled: 1-line block ×3, first 2 shown]
	v_add_f64 v[50:51], v[50:51], v[182:183]
	v_add_f64 v[52:53], v[52:53], v[184:185]
	v_fma_f64 v[70:71], v[190:191], s[4:5], v[58:59]
	v_fma_f64 v[118:119], v[192:193], s[4:5], v[64:65]
	;; [unrolled: 1-line block ×4, first 2 shown]
	s_waitcnt lgkmcnt(0)
	s_barrier
	ds_read_b64 v[84:85], v121 offset:6480
	ds_read_b64 v[48:49], v176 offset:9720
	ds_read2_b64 v[0:3], v121 offset1:135
	ds_read2_b64 v[4:7], v161 offset0:70 offset1:205
	ds_read2_b64 v[8:11], v160 offset0:12 offset1:147
	;; [unrolled: 1-line block ×13, first 2 shown]
	s_waitcnt lgkmcnt(0)
	s_barrier
	ds_write2_b64 v121, v[50:51], v[52:53] offset1:135
	v_add_f64 v[50:51], v[110:111], v[114:115]
	v_add_f64 v[52:53], v[124:125], v[132:133]
	ds_write2_b64 v142, v[70:71], v[118:119] offset0:4 offset1:139
	v_add_f64 v[70:71], v[56:57], v[102:103]
	v_fma_f64 v[56:57], v[194:195], -0.5, v[56:57]
	ds_write2_b64 v162, v[94:95], v[58:59] offset0:14 offset1:194
	ds_write2_b64 v165, v[64:65], v[98:99] offset0:73 offset1:208
	v_add_f64 v[58:59], v[96:97], -v[100:101]
	v_fma_f64 v[54:55], v[104:105], s[4:5], v[54:55]
	v_add_f64 v[64:65], v[66:67], v[110:111]
	v_add_f64 v[94:95], v[68:69], v[124:125]
	v_fma_f64 v[50:51], v[50:51], -0.5, v[66:67]
	v_fma_f64 v[52:53], v[52:53], -0.5, v[68:69]
	v_add_f64 v[66:67], v[108:109], -v[126:127]
	v_add_f64 v[68:69], v[112:113], -v[116:117]
	v_add_f64 v[70:71], v[70:71], v[106:107]
	v_fma_f64 v[96:97], v[58:59], s[6:7], v[56:57]
	v_fma_f64 v[56:57], v[58:59], s[4:5], v[56:57]
	ds_write_b64 v121, v[54:55] offset:9360
	v_add_f64 v[54:55], v[64:65], v[114:115]
	v_add_f64 v[58:59], v[94:95], v[132:133]
	v_fma_f64 v[64:65], v[66:67], s[6:7], v[50:51]
	v_fma_f64 v[94:95], v[68:69], s[6:7], v[52:53]
	;; [unrolled: 1-line block ×3, first 2 shown]
	v_add_f64 v[66:67], v[136:137], v[140:141]
	v_fma_f64 v[52:53], v[68:69], s[4:5], v[52:53]
	ds_write_b64 v159, v[70:71]
	ds_write_b64 v159, v[96:97] offset:3600
	ds_write_b64 v159, v[56:57] offset:7200
	ds_write2_b64 v175, v[54:55], v[58:59] offset0:32 offset1:167
	v_add_f64 v[54:55], v[138:139], v[46:47]
	ds_write2_b64 v198, v[64:65], v[94:95] offset0:98 offset1:233
	ds_write2_b64 v199, v[50:51], v[52:53] offset0:36 offset1:171
	v_add_f64 v[50:51], v[149:150], v[157:158]
	v_fma_f64 v[56:57], v[66:67], -0.5, v[186:187]
	v_add_f64 v[58:59], v[134:135], -v[143:144]
	v_add_f64 v[52:53], v[186:187], v[136:137]
	v_add_f64 v[68:69], v[153:154], v[180:181]
	;; [unrolled: 1-line block ×3, first 2 shown]
	v_fma_f64 v[54:55], v[54:55], -0.5, v[90:91]
	v_add_f64 v[44:45], v[44:45], -v[145:146]
	v_add_f64 v[66:67], v[92:93], v[149:150]
	v_fma_f64 v[50:51], v[50:51], -0.5, v[92:93]
	v_fma_f64 v[70:71], v[58:59], s[6:7], v[56:57]
	v_fma_f64 v[56:57], v[58:59], s[4:5], v[56:57]
	v_add_f64 v[58:59], v[147:148], -v[155:156]
	v_add_f64 v[90:91], v[188:189], v[153:154]
	v_add_f64 v[52:53], v[52:53], v[140:141]
	v_fma_f64 v[68:69], v[68:69], -0.5, v[188:189]
	v_add_f64 v[92:93], v[151:152], -v[178:179]
	v_add_f64 v[46:47], v[64:65], v[46:47]
	v_fma_f64 v[64:65], v[44:45], s[6:7], v[54:55]
	v_fma_f64 v[44:45], v[44:45], s[4:5], v[54:55]
	v_add_f64 v[54:55], v[66:67], v[157:158]
	v_fma_f64 v[66:67], v[58:59], s[6:7], v[50:51]
	v_fma_f64 v[50:51], v[58:59], s[4:5], v[50:51]
	v_add_f64 v[58:59], v[90:91], v[180:181]
	s_movk_i32 s12, 0x2000
	s_movk_i32 s11, 0x7000
	v_fma_f64 v[90:91], v[92:93], s[6:7], v[68:69]
	v_fma_f64 v[68:69], v[92:93], s[4:5], v[68:69]
	ds_write_b64 v200, v[52:53]
	ds_write_b64 v200, v[70:71] offset:3600
	ds_write_b64 v200, v[56:57] offset:7200
	;; [unrolled: 1-line block ×11, first 2 shown]
	s_waitcnt lgkmcnt(0)
	s_barrier
	s_and_saveexec_b64 s[14:15], s[0:1]
	s_cbranch_execz .LBB0_13
; %bb.12:
	v_lshlrev_b32_e32 v80, 1, v129
	v_lshlrev_b64 v[44:45], 4, v[80:81]
	v_mov_b32_e32 v146, s9
	v_add_co_u32_e32 v44, vcc, s8, v44
	v_addc_co_u32_e32 v45, vcc, v146, v45, vcc
	v_add_co_u32_e32 v54, vcc, 0x53c0, v44
	v_addc_co_u32_e32 v55, vcc, 0, v45, vcc
	;; [unrolled: 2-line block ×3, first 2 shown]
	v_lshlrev_b32_e32 v80, 1, v131
	global_load_dwordx4 v[44:47], v[56:57], off offset:960
	global_load_dwordx4 v[50:53], v[54:55], off offset:16
	v_lshlrev_b64 v[54:55], 4, v[80:81]
	s_movk_i32 s0, 0x5000
	v_add_co_u32_e32 v58, vcc, s8, v54
	v_addc_co_u32_e32 v59, vcc, v146, v55, vcc
	v_add_co_u32_e32 v54, vcc, s0, v58
	v_addc_co_u32_e32 v55, vcc, 0, v59, vcc
	global_load_dwordx4 v[54:57], v[54:55], off offset:960
	s_movk_i32 s1, 0x53c0
	v_add_co_u32_e32 v58, vcc, s1, v58
	v_addc_co_u32_e32 v59, vcc, 0, v59, vcc
	global_load_dwordx4 v[64:67], v[58:59], off offset:16
	v_lshlrev_b32_e32 v80, 1, v128
	v_lshlrev_b64 v[58:59], 4, v[80:81]
	v_add_co_u32_e32 v80, vcc, s8, v58
	v_addc_co_u32_e32 v90, vcc, v146, v59, vcc
	v_add_co_u32_e32 v58, vcc, s0, v80
	v_addc_co_u32_e32 v59, vcc, 0, v90, vcc
	global_load_dwordx4 v[68:71], v[58:59], off offset:960
	v_add_co_u32_e32 v58, vcc, s1, v80
	v_addc_co_u32_e32 v59, vcc, 0, v90, vcc
	global_load_dwordx4 v[90:93], v[58:59], off offset:16
	v_lshlrev_b32_e32 v80, 1, v130
	v_lshlrev_b64 v[114:115], 4, v[80:81]
	v_lshlrev_b32_e32 v80, 1, v174
	v_lshlrev_b64 v[132:133], 4, v[80:81]
	v_add_co_u32_e32 v80, vcc, s8, v114
	v_addc_co_u32_e32 v115, vcc, v146, v115, vcc
	v_add_co_u32_e32 v124, vcc, s1, v80
	v_addc_co_u32_e32 v125, vcc, 0, v115, vcc
	;; [unrolled: 2-line block ×3, first 2 shown]
	ds_read2_b64 v[94:97], v169 offset0:62 offset1:197
	ds_read2_b64 v[98:101], v171 offset0:68 offset1:203
	;; [unrolled: 1-line block ×5, first 2 shown]
	ds_read_b64 v[58:59], v176 offset:9720
	ds_read_b64 v[118:119], v121 offset:6480
	global_load_dwordx4 v[114:117], v[114:115], off offset:960
	s_nop 0
	global_load_dwordx4 v[124:127], v[124:125], off offset:16
	v_add_co_u32_e32 v80, vcc, s8, v132
	v_addc_co_u32_e32 v142, vcc, v146, v133, vcc
	s_waitcnt vmcnt(7)
	v_mul_f64 v[134:135], v[38:39], v[46:47]
	s_waitcnt vmcnt(6)
	v_mul_f64 v[136:137], v[42:43], v[52:53]
	s_waitcnt lgkmcnt(6)
	v_mul_f64 v[46:47], v[96:97], v[46:47]
	s_waitcnt lgkmcnt(5)
	v_mul_f64 v[52:53], v[100:101], v[52:53]
	v_fma_f64 v[38:39], v[38:39], v[44:45], v[46:47]
	s_waitcnt vmcnt(5)
	v_mul_f64 v[132:133], v[36:37], v[56:57]
	v_mul_f64 v[56:57], v[94:95], v[56:57]
	s_waitcnt vmcnt(4)
	v_mul_f64 v[138:139], v[40:41], v[66:67]
	v_mul_f64 v[66:67], v[98:99], v[66:67]
	v_fma_f64 v[132:133], v[54:55], v[94:95], -v[132:133]
	v_fma_f64 v[94:95], v[44:45], v[96:97], -v[134:135]
	v_fma_f64 v[44:45], v[42:43], v[50:51], v[52:53]
	v_fma_f64 v[96:97], v[50:51], v[100:101], -v[136:137]
	v_fma_f64 v[56:57], v[36:37], v[54:55], v[56:57]
	v_add_co_u32_e32 v50, vcc, s1, v80
	v_fma_f64 v[52:53], v[64:65], v[98:99], -v[138:139]
	v_addc_co_u32_e32 v51, vcc, 0, v142, vcc
	v_add_f64 v[46:47], v[38:39], v[44:45]
	s_waitcnt lgkmcnt(1)
	v_add_f64 v[54:55], v[58:59], v[94:95]
	v_add_f64 v[42:43], v[94:95], v[96:97]
	v_fma_f64 v[64:65], v[40:41], v[64:65], v[66:67]
	v_add_f64 v[40:41], v[38:39], -v[44:45]
	v_add_f64 v[36:37], v[132:133], v[52:53]
	s_waitcnt vmcnt(3)
	v_mul_f64 v[134:135], v[74:75], v[70:71]
	s_waitcnt vmcnt(2)
	v_mul_f64 v[136:137], v[78:79], v[92:93]
	v_fma_f64 v[66:67], v[46:47], -0.5, v[48:49]
	v_add_f64 v[46:47], v[54:55], v[96:97]
	v_add_co_u32_e32 v54, vcc, s0, v80
	v_addc_co_u32_e32 v55, vcc, 0, v142, vcc
	v_fma_f64 v[42:43], v[42:43], -0.5, v[58:59]
	v_add_f64 v[58:59], v[94:95], -v[96:97]
	global_load_dwordx4 v[94:97], v[54:55], off offset:960
	global_load_dwordx4 v[98:101], v[50:51], off offset:16
	v_add_f64 v[48:49], v[48:49], v[38:39]
	v_fma_f64 v[140:141], v[36:37], -0.5, v[104:105]
	v_lshlrev_b32_e32 v80, 1, v173
	v_fma_f64 v[136:137], v[90:91], v[112:113], -v[136:137]
	v_add_f64 v[104:105], v[104:105], v[132:133]
	v_fma_f64 v[38:39], v[40:41], s[4:5], v[42:43]
	v_fma_f64 v[42:43], v[40:41], s[6:7], v[42:43]
	;; [unrolled: 1-line block ×3, first 2 shown]
	v_add_f64 v[44:45], v[48:49], v[44:45]
	v_add_f64 v[48:49], v[56:57], v[64:65]
	v_fma_f64 v[40:41], v[58:59], s[4:5], v[66:67]
	v_mul_f64 v[58:59], v[108:109], v[70:71]
	v_fma_f64 v[66:67], v[68:69], v[108:109], -v[134:135]
	v_mul_f64 v[70:71], v[112:113], v[92:93]
	v_add_f64 v[112:113], v[132:133], -v[52:53]
	v_add_f64 v[138:139], v[56:57], -v[64:65]
	v_add_f64 v[56:57], v[62:63], v[56:57]
	v_fma_f64 v[108:109], v[48:49], -0.5, v[62:63]
	v_lshlrev_b64 v[48:49], 4, v[80:81]
	v_fma_f64 v[68:69], v[74:75], v[68:69], v[58:59]
	v_add_co_u32_e32 v58, vcc, s8, v48
	v_addc_co_u32_e32 v59, vcc, v146, v49, vcc
	v_add_co_u32_e32 v48, vcc, s1, v58
	v_addc_co_u32_e32 v49, vcc, 0, v59, vcc
	;; [unrolled: 2-line block ×3, first 2 shown]
	v_fma_f64 v[74:75], v[78:79], v[90:91], v[70:71]
	global_load_dwordx4 v[90:93], v[58:59], off offset:960
	global_load_dwordx4 v[132:135], v[48:49], off offset:16
	s_waitcnt vmcnt(5)
	v_mul_f64 v[70:71], v[72:73], v[116:117]
	s_waitcnt vmcnt(4)
	v_mul_f64 v[78:79], v[76:77], v[126:127]
	v_fma_f64 v[50:51], v[138:139], s[4:5], v[140:141]
	v_fma_f64 v[54:55], v[138:139], s[6:7], v[140:141]
	v_add_f64 v[138:139], v[66:67], v[136:137]
	v_add_f64 v[56:57], v[56:57], v[64:65]
	v_add_f64 v[64:65], v[102:103], v[66:67]
	v_add_f64 v[62:63], v[68:69], v[74:75]
	v_fma_f64 v[140:141], v[114:115], v[106:107], -v[70:71]
	v_mul_f64 v[106:107], v[106:107], v[116:117]
	v_fma_f64 v[142:143], v[124:125], v[110:111], -v[78:79]
	v_mul_f64 v[110:111], v[110:111], v[126:127]
	v_add_f64 v[58:59], v[104:105], v[52:53]
	v_fma_f64 v[104:105], v[138:139], -0.5, v[102:103]
	v_add_f64 v[138:139], v[68:69], -v[74:75]
	v_add_f64 v[68:69], v[60:61], v[68:69]
	v_lshlrev_b32_e32 v80, 1, v172
	v_add_f64 v[102:103], v[66:67], -v[136:137]
	v_add_f64 v[70:71], v[64:65], v[136:137]
	v_fma_f64 v[136:137], v[72:73], v[114:115], v[106:107]
	v_lshlrev_b64 v[72:73], 4, v[80:81]
	v_fma_f64 v[144:145], v[76:77], v[124:125], v[110:111]
	v_add_co_u32_e32 v76, vcc, s8, v72
	v_fma_f64 v[78:79], v[62:63], -0.5, v[60:61]
	v_addc_co_u32_e32 v77, vcc, v146, v73, vcc
	v_add_co_u32_e32 v72, vcc, s0, v76
	v_addc_co_u32_e32 v73, vcc, 0, v77, vcc
	v_add_f64 v[68:69], v[68:69], v[74:75]
	global_load_dwordx4 v[72:75], v[72:73], off offset:960
	v_add_co_u32_e32 v76, vcc, s1, v76
	v_addc_co_u32_e32 v77, vcc, 0, v77, vcc
	v_fma_f64 v[60:61], v[102:103], s[6:7], v[78:79]
	v_fma_f64 v[64:65], v[102:103], s[4:5], v[78:79]
	global_load_dwordx4 v[76:79], v[76:77], off offset:16
	v_fma_f64 v[48:49], v[112:113], s[6:7], v[108:109]
	v_fma_f64 v[52:53], v[112:113], s[4:5], v[108:109]
	v_add_f64 v[108:109], v[140:141], v[142:143]
	v_fma_f64 v[62:63], v[138:139], s[4:5], v[104:105]
	v_fma_f64 v[66:67], v[138:139], s[6:7], v[104:105]
	s_waitcnt vmcnt(5)
	v_mul_f64 v[146:147], v[30:31], v[96:97]
	v_add_f64 v[138:139], v[136:137], v[144:145]
	v_add_f64 v[124:125], v[136:137], -v[144:145]
	s_waitcnt vmcnt(4)
	v_mul_f64 v[148:149], v[34:35], v[100:101]
	s_waitcnt lgkmcnt(0)
	v_fma_f64 v[126:127], v[108:109], -0.5, v[118:119]
	ds_read2_b64 v[102:105], v167 offset0:98 offset1:233
	ds_read2_b64 v[106:109], v166 offset0:40 offset1:175
	s_waitcnt lgkmcnt(1)
	v_mul_f64 v[150:151], v[104:105], v[96:97]
	v_add_co_u32_e32 v96, vcc, s1, v88
	v_addc_co_u32_e32 v97, vcc, 0, v89, vcc
	v_add_co_u32_e32 v88, vcc, s0, v88
	v_addc_co_u32_e32 v89, vcc, 0, v89, vcc
	global_load_dwordx4 v[110:113], v[88:89], off offset:960
	global_load_dwordx4 v[114:117], v[96:97], off offset:16
	s_waitcnt lgkmcnt(0)
	v_mul_f64 v[100:101], v[108:109], v[100:101]
	v_add_f64 v[88:89], v[118:119], v[140:141]
	v_fma_f64 v[118:119], v[138:139], -0.5, v[84:85]
	v_add_f64 v[138:139], v[140:141], -v[142:143]
	v_add_co_u32_e32 v140, vcc, s1, v86
	v_addc_co_u32_e32 v141, vcc, 0, v87, vcc
	v_add_co_u32_e32 v86, vcc, s0, v86
	v_addc_co_u32_e32 v87, vcc, 0, v87, vcc
	v_fma_f64 v[96:97], v[124:125], s[4:5], v[126:127]
	v_fma_f64 v[146:147], v[94:95], v[104:105], -v[146:147]
	v_fma_f64 v[108:109], v[98:99], v[108:109], -v[148:149]
	v_fma_f64 v[148:149], v[30:31], v[94:95], v[150:151]
	v_fma_f64 v[150:151], v[34:35], v[98:99], v[100:101]
	;; [unrolled: 1-line block ×3, first 2 shown]
	v_add_f64 v[88:89], v[88:89], v[142:143]
	v_fma_f64 v[94:95], v[138:139], s[6:7], v[118:119]
	v_fma_f64 v[98:99], v[138:139], s[4:5], v[118:119]
	v_add_f64 v[30:31], v[84:85], v[136:137]
	ds_read2_b64 v[124:127], v165 offset0:28 offset1:163
	global_load_dwordx4 v[136:139], v[86:87], off offset:960
	s_nop 0
	global_load_dwordx4 v[140:143], v[140:141], off offset:16
	v_add_f64 v[84:85], v[148:149], v[150:151]
	s_waitcnt vmcnt(7)
	v_mul_f64 v[104:105], v[28:29], v[92:93]
	v_mul_f64 v[156:157], v[102:103], v[92:93]
	v_add_f64 v[34:35], v[146:147], v[108:109]
	s_waitcnt vmcnt(6)
	v_mul_f64 v[118:119], v[32:33], v[134:135]
	v_add_f64 v[86:87], v[30:31], v[144:145]
	v_add_co_u32_e32 v30, vcc, s1, v82
	v_addc_co_u32_e32 v31, vcc, 0, v83, vcc
	v_add_co_u32_e32 v82, vcc, s0, v82
	v_addc_co_u32_e32 v83, vcc, 0, v83, vcc
	v_fma_f64 v[152:153], v[84:85], -0.5, v[26:27]
	v_fma_f64 v[154:155], v[90:91], v[102:103], -v[104:105]
	global_load_dwordx4 v[82:85], v[82:83], off offset:960
	s_nop 0
	global_load_dwordx4 v[102:105], v[30:31], off offset:16
	s_waitcnt lgkmcnt(0)
	v_fma_f64 v[34:35], v[34:35], -0.5, v[126:127]
	v_add_f64 v[144:145], v[148:149], -v[150:151]
	v_fma_f64 v[118:119], v[132:133], v[106:107], -v[118:119]
	v_mul_f64 v[106:107], v[106:107], v[134:135]
	v_add_f64 v[26:27], v[26:27], v[148:149]
	v_add_f64 v[126:127], v[126:127], v[146:147]
	v_add_f64 v[134:135], v[146:147], -v[108:109]
	v_fma_f64 v[146:147], v[28:29], v[90:91], v[156:157]
	v_add_co_u32_e32 v122, vcc, s2, v122
	v_fma_f64 v[30:31], v[144:145], s[4:5], v[34:35]
	v_fma_f64 v[34:35], v[144:145], s[6:7], v[34:35]
	v_add_f64 v[144:145], v[154:155], v[118:119]
	v_fma_f64 v[148:149], v[32:33], v[132:133], v[106:107]
	v_add_f64 v[90:91], v[26:27], v[150:151]
	s_waitcnt vmcnt(7)
	v_mul_f64 v[26:27], v[18:19], v[74:75]
	v_add_f64 v[92:93], v[126:127], v[108:109]
	v_fma_f64 v[28:29], v[134:135], s[6:7], v[152:153]
	v_fma_f64 v[32:33], v[134:135], s[4:5], v[152:153]
	ds_read2_b64 v[106:109], v163 offset0:84 offset1:219
	ds_read2_b64 v[132:135], v164 offset0:26 offset1:161
	v_fma_f64 v[126:127], v[144:145], -0.5, v[124:125]
	s_waitcnt vmcnt(6)
	v_mul_f64 v[144:145], v[22:23], v[78:79]
	v_add_f64 v[150:151], v[146:147], -v[148:149]
	v_add_f64 v[152:153], v[146:147], v[148:149]
	v_add_f64 v[124:125], v[124:125], v[154:155]
	s_waitcnt lgkmcnt(1)
	v_fma_f64 v[156:157], v[72:73], v[108:109], -v[26:27]
	v_mul_f64 v[108:109], v[108:109], v[74:75]
	s_waitcnt lgkmcnt(0)
	v_mul_f64 v[158:159], v[134:135], v[78:79]
	s_mov_b32 s1, 0xa000
	v_fma_f64 v[134:135], v[76:77], v[134:135], -v[144:145]
	v_fma_f64 v[74:75], v[150:151], s[4:5], v[126:127]
	v_fma_f64 v[78:79], v[150:151], s[6:7], v[126:127]
	v_fma_f64 v[144:145], v[152:153], -0.5, v[24:25]
	v_add_f64 v[150:151], v[154:155], -v[118:119]
	v_add_f64 v[26:27], v[124:125], v[118:119]
	v_fma_f64 v[118:119], v[18:19], v[72:73], v[108:109]
	v_fma_f64 v[152:153], v[22:23], v[76:77], v[158:159]
	v_add_f64 v[18:19], v[156:157], v[134:135]
	s_waitcnt vmcnt(5)
	v_mul_f64 v[22:23], v[16:17], v[112:113]
	s_waitcnt vmcnt(4)
	v_mul_f64 v[108:109], v[20:21], v[116:117]
	ds_read2_b64 v[124:127], v162 offset0:14 offset1:149
	v_fma_f64 v[72:73], v[150:151], s[6:7], v[144:145]
	v_fma_f64 v[76:77], v[150:151], s[4:5], v[144:145]
	v_add_f64 v[24:25], v[24:25], v[146:147]
	v_add_f64 v[144:145], v[118:119], v[152:153]
	s_waitcnt lgkmcnt(0)
	v_fma_f64 v[146:147], v[18:19], -0.5, v[126:127]
	v_fma_f64 v[150:151], v[110:111], v[106:107], -v[22:23]
	v_mul_f64 v[18:19], v[106:107], v[112:113]
	v_mul_f64 v[22:23], v[132:133], v[116:117]
	v_add_f64 v[106:107], v[118:119], -v[152:153]
	v_fma_f64 v[154:155], v[114:115], v[132:133], -v[108:109]
	v_add_f64 v[116:117], v[156:157], -v[134:135]
	v_fma_f64 v[112:113], v[144:145], -0.5, v[14:15]
	v_add_f64 v[24:25], v[24:25], v[148:149]
	v_add_f64 v[108:109], v[126:127], v[156:157]
	v_fma_f64 v[132:133], v[16:17], v[110:111], v[18:19]
	v_fma_f64 v[144:145], v[20:21], v[114:115], v[22:23]
	;; [unrolled: 1-line block ×4, first 2 shown]
	v_add_f64 v[126:127], v[150:151], v[154:155]
	s_waitcnt vmcnt(3)
	v_mul_f64 v[146:147], v[6:7], v[138:139]
	s_waitcnt vmcnt(2)
	v_mul_f64 v[148:149], v[10:11], v[142:143]
	v_fma_f64 v[16:17], v[116:117], s[6:7], v[112:113]
	v_fma_f64 v[20:21], v[116:117], s[4:5], v[112:113]
	ds_read2_b64 v[110:113], v161 offset0:70 offset1:205
	ds_read2_b64 v[114:117], v160 offset0:12 offset1:147
	v_add_f64 v[108:109], v[108:109], v[134:135]
	v_add_f64 v[14:15], v[14:15], v[118:119]
	v_fma_f64 v[126:127], v[126:127], -0.5, v[124:125]
	s_waitcnt lgkmcnt(1)
	v_fma_f64 v[146:147], v[136:137], v[112:113], -v[146:147]
	s_waitcnt lgkmcnt(0)
	v_fma_f64 v[148:149], v[140:141], v[116:117], -v[148:149]
	v_mul_f64 v[138:139], v[112:113], v[138:139]
	v_add_f64 v[134:135], v[132:133], -v[144:145]
	v_add_f64 v[124:125], v[124:125], v[150:151]
	v_mul_f64 v[116:117], v[116:117], v[142:143]
	v_add_f64 v[142:143], v[150:151], -v[154:155]
	v_add_f64 v[106:107], v[14:15], v[152:153]
	v_add_f64 v[152:153], v[132:133], v[144:145]
	;; [unrolled: 1-line block ×3, first 2 shown]
	v_fma_f64 v[6:7], v[6:7], v[136:137], v[138:139]
	s_waitcnt vmcnt(1)
	v_mul_f64 v[136:137], v[4:5], v[84:85]
	s_waitcnt vmcnt(0)
	v_mul_f64 v[138:139], v[8:9], v[104:105]
	v_mul_f64 v[84:85], v[110:111], v[84:85]
	;; [unrolled: 1-line block ×3, first 2 shown]
	v_fma_f64 v[118:119], v[134:135], s[4:5], v[126:127]
	v_fma_f64 v[14:15], v[134:135], s[6:7], v[126:127]
	v_add_f64 v[112:113], v[124:125], v[154:155]
	ds_read2_b64 v[124:127], v121 offset1:135
	v_fma_f64 v[10:11], v[10:11], v[140:141], v[116:117]
	v_fma_f64 v[136:137], v[82:83], v[110:111], -v[136:137]
	v_fma_f64 v[82:83], v[4:5], v[82:83], v[84:85]
	v_fma_f64 v[114:115], v[102:103], v[114:115], -v[138:139]
	s_waitcnt lgkmcnt(0)
	v_fma_f64 v[140:141], v[150:151], -0.5, v[126:127]
	v_fma_f64 v[150:151], v[8:9], v[102:103], v[104:105]
	v_fma_f64 v[134:135], v[152:153], -0.5, v[12:13]
	v_add_f64 v[132:133], v[12:13], v[132:133]
	v_add_f64 v[84:85], v[6:7], v[10:11]
	;; [unrolled: 1-line block ×3, first 2 shown]
	v_add_f64 v[138:139], v[6:7], -v[10:11]
	v_add_f64 v[104:105], v[136:137], v[114:115]
	v_mov_b32_e32 v121, v81
	v_add_f64 v[126:127], v[82:83], v[150:151]
	v_fma_f64 v[116:117], v[142:143], s[6:7], v[134:135]
	v_fma_f64 v[12:13], v[142:143], s[4:5], v[134:135]
	v_add_f64 v[110:111], v[132:133], v[144:145]
	v_fma_f64 v[132:133], v[84:85], -0.5, v[2:3]
	v_add_f64 v[134:135], v[146:147], -v[148:149]
	v_fma_f64 v[4:5], v[138:139], s[4:5], v[140:141]
	v_fma_f64 v[8:9], v[138:139], s[6:7], v[140:141]
	v_fma_f64 v[142:143], v[126:127], -0.5, v[0:1]
	v_add_f64 v[0:1], v[0:1], v[82:83]
	v_add_f64 v[84:85], v[102:103], v[148:149]
	;; [unrolled: 1-line block ×3, first 2 shown]
	v_fma_f64 v[138:139], v[104:105], -0.5, v[124:125]
	v_add_f64 v[140:141], v[82:83], -v[150:151]
	v_add_f64 v[124:125], v[124:125], v[136:137]
	v_add_f64 v[136:137], v[136:137], -v[114:115]
	v_fma_f64 v[2:3], v[134:135], s[6:7], v[132:133]
	v_fma_f64 v[6:7], v[134:135], s[4:5], v[132:133]
	v_add_f64 v[132:133], v[0:1], v[150:151]
	v_mov_b32_e32 v0, s3
	v_add_f64 v[82:83], v[102:103], v[10:11]
	v_fma_f64 v[104:105], v[140:141], s[4:5], v[138:139]
	v_fma_f64 v[126:127], v[140:141], s[6:7], v[138:139]
	v_add_f64 v[134:135], v[124:125], v[114:115]
	v_fma_f64 v[102:103], v[136:137], s[6:7], v[142:143]
	v_fma_f64 v[124:125], v[136:137], s[4:5], v[142:143]
	v_addc_co_u32_e32 v123, vcc, v0, v123, vcc
	v_lshlrev_b64 v[0:1], 4, v[120:121]
	s_mov_b32 s2, 0xb000
	v_add_co_u32_e32 v0, vcc, v122, v0
	v_addc_co_u32_e32 v1, vcc, v123, v1, vcc
	v_add_co_u32_e32 v10, vcc, s0, v0
	v_addc_co_u32_e32 v11, vcc, 0, v1, vcc
	;; [unrolled: 2-line block ×3, first 2 shown]
	global_store_dwordx4 v[0:1], v[132:135], off
	global_store_dwordx4 v[10:11], v[124:127], off offset:1120
	global_store_dwordx4 v[114:115], v[102:105], off offset:2240
	;; [unrolled: 1-line block ×4, first 2 shown]
	s_mov_b32 s3, 0xc22e4507
	v_add_co_u32_e32 v6, vcc, s2, v0
	v_addc_co_u32_e32 v7, vcc, 0, v1, vcc
	global_store_dwordx4 v[6:7], v[2:5], off offset:304
	s_movk_i32 s2, 0x6000
	v_add_co_u32_e32 v2, vcc, s10, v0
	v_addc_co_u32_e32 v3, vcc, 0, v1, vcc
	v_add_co_u32_e32 v4, vcc, s2, v0
	v_addc_co_u32_e32 v5, vcc, 0, v1, vcc
	s_mov_b32 s2, 0xc000
	global_store_dwordx4 v[2:3], v[110:113], off offset:224
	global_store_dwordx4 v[4:5], v[12:15], off offset:1344
	;; [unrolled: 1-line block ×5, first 2 shown]
	v_add_co_u32_e32 v2, vcc, s2, v0
	v_addc_co_u32_e32 v3, vcc, 0, v1, vcc
	v_add_co_u32_e32 v4, vcc, s12, v0
	v_addc_co_u32_e32 v5, vcc, 0, v1, vcc
	;; [unrolled: 2-line block ×3, first 2 shown]
	global_store_dwordx4 v[2:3], v[16:19], off offset:528
	global_store_dwordx4 v[4:5], v[24:27], off offset:448
	;; [unrolled: 1-line block ×6, first 2 shown]
	v_mul_hi_u32 v2, v130, s3
	s_mov_b32 s2, 0xd000
	v_add_co_u32_e32 v0, vcc, s2, v0
	v_addc_co_u32_e32 v1, vcc, 0, v1, vcc
	global_store_dwordx4 v[0:1], v[28:31], off offset:752
	v_lshrrev_b32_e32 v0, 10, v2
	s_movk_i32 s2, 0xa8c
	v_mad_u32_u24 v80, v0, s2, v130
	v_lshlrev_b64 v[0:1], 4, v[80:81]
	v_add_co_u32_e32 v0, vcc, v122, v0
	v_addc_co_u32_e32 v1, vcc, v123, v1, vcc
	v_add_co_u32_e32 v2, vcc, s0, v0
	v_addc_co_u32_e32 v3, vcc, 0, v1, vcc
	global_store_dwordx4 v[2:3], v[98:101], off offset:1120
	v_mul_hi_u32 v2, v128, s3
	global_store_dwordx4 v[0:1], v[86:89], off
	v_add_co_u32_e32 v0, vcc, s1, v0
	v_addc_co_u32_e32 v1, vcc, 0, v1, vcc
	global_store_dwordx4 v[0:1], v[94:97], off offset:2240
	v_lshrrev_b32_e32 v0, 10, v2
	v_mad_u32_u24 v80, v0, s2, v128
	v_lshlrev_b64 v[0:1], 4, v[80:81]
	v_add_co_u32_e32 v0, vcc, v122, v0
	v_addc_co_u32_e32 v1, vcc, v123, v1, vcc
	v_add_co_u32_e32 v2, vcc, s0, v0
	v_addc_co_u32_e32 v3, vcc, 0, v1, vcc
	global_store_dwordx4 v[2:3], v[64:67], off offset:1120
	v_mul_hi_u32 v2, v131, s3
	global_store_dwordx4 v[0:1], v[68:71], off
	v_add_co_u32_e32 v0, vcc, s1, v0
	v_addc_co_u32_e32 v1, vcc, 0, v1, vcc
	global_store_dwordx4 v[0:1], v[60:63], off offset:2240
	v_lshrrev_b32_e32 v0, 10, v2
	;; [unrolled: 13-line block ×3, first 2 shown]
	v_mad_u32_u24 v80, v0, s2, v129
	v_lshlrev_b64 v[0:1], 4, v[80:81]
	v_add_co_u32_e32 v0, vcc, v122, v0
	v_addc_co_u32_e32 v1, vcc, v123, v1, vcc
	v_add_co_u32_e32 v2, vcc, 0x5000, v0
	v_addc_co_u32_e32 v3, vcc, 0, v1, vcc
	global_store_dwordx4 v[0:1], v[44:47], off
	v_add_co_u32_e32 v0, vcc, 0xa000, v0
	v_addc_co_u32_e32 v1, vcc, 0, v1, vcc
	global_store_dwordx4 v[2:3], v[40:43], off offset:1120
	global_store_dwordx4 v[0:1], v[36:39], off offset:2240
.LBB0_13:
	s_endpgm
	.section	.rodata,"a",@progbits
	.p2align	6, 0x0
	.amdhsa_kernel fft_rtc_back_len4050_factors_10_5_3_3_3_3_wgs_135_tpt_135_halfLds_dp_ip_CI_unitstride_sbrr_dirReg
		.amdhsa_group_segment_fixed_size 0
		.amdhsa_private_segment_fixed_size 0
		.amdhsa_kernarg_size 88
		.amdhsa_user_sgpr_count 6
		.amdhsa_user_sgpr_private_segment_buffer 1
		.amdhsa_user_sgpr_dispatch_ptr 0
		.amdhsa_user_sgpr_queue_ptr 0
		.amdhsa_user_sgpr_kernarg_segment_ptr 1
		.amdhsa_user_sgpr_dispatch_id 0
		.amdhsa_user_sgpr_flat_scratch_init 0
		.amdhsa_user_sgpr_private_segment_size 0
		.amdhsa_uses_dynamic_stack 0
		.amdhsa_system_sgpr_private_segment_wavefront_offset 0
		.amdhsa_system_sgpr_workgroup_id_x 1
		.amdhsa_system_sgpr_workgroup_id_y 0
		.amdhsa_system_sgpr_workgroup_id_z 0
		.amdhsa_system_sgpr_workgroup_info 0
		.amdhsa_system_vgpr_workitem_id 0
		.amdhsa_next_free_vgpr 227
		.amdhsa_next_free_sgpr 22
		.amdhsa_reserve_vcc 1
		.amdhsa_reserve_flat_scratch 0
		.amdhsa_float_round_mode_32 0
		.amdhsa_float_round_mode_16_64 0
		.amdhsa_float_denorm_mode_32 3
		.amdhsa_float_denorm_mode_16_64 3
		.amdhsa_dx10_clamp 1
		.amdhsa_ieee_mode 1
		.amdhsa_fp16_overflow 0
		.amdhsa_exception_fp_ieee_invalid_op 0
		.amdhsa_exception_fp_denorm_src 0
		.amdhsa_exception_fp_ieee_div_zero 0
		.amdhsa_exception_fp_ieee_overflow 0
		.amdhsa_exception_fp_ieee_underflow 0
		.amdhsa_exception_fp_ieee_inexact 0
		.amdhsa_exception_int_div_zero 0
	.end_amdhsa_kernel
	.text
.Lfunc_end0:
	.size	fft_rtc_back_len4050_factors_10_5_3_3_3_3_wgs_135_tpt_135_halfLds_dp_ip_CI_unitstride_sbrr_dirReg, .Lfunc_end0-fft_rtc_back_len4050_factors_10_5_3_3_3_3_wgs_135_tpt_135_halfLds_dp_ip_CI_unitstride_sbrr_dirReg
                                        ; -- End function
	.section	.AMDGPU.csdata,"",@progbits
; Kernel info:
; codeLenInByte = 23076
; NumSgprs: 26
; NumVgprs: 227
; ScratchSize: 0
; MemoryBound: 1
; FloatMode: 240
; IeeeMode: 1
; LDSByteSize: 0 bytes/workgroup (compile time only)
; SGPRBlocks: 3
; VGPRBlocks: 56
; NumSGPRsForWavesPerEU: 26
; NumVGPRsForWavesPerEU: 227
; Occupancy: 1
; WaveLimiterHint : 1
; COMPUTE_PGM_RSRC2:SCRATCH_EN: 0
; COMPUTE_PGM_RSRC2:USER_SGPR: 6
; COMPUTE_PGM_RSRC2:TRAP_HANDLER: 0
; COMPUTE_PGM_RSRC2:TGID_X_EN: 1
; COMPUTE_PGM_RSRC2:TGID_Y_EN: 0
; COMPUTE_PGM_RSRC2:TGID_Z_EN: 0
; COMPUTE_PGM_RSRC2:TIDIG_COMP_CNT: 0
	.type	__hip_cuid_9f3b624862e0a5c1,@object ; @__hip_cuid_9f3b624862e0a5c1
	.section	.bss,"aw",@nobits
	.globl	__hip_cuid_9f3b624862e0a5c1
__hip_cuid_9f3b624862e0a5c1:
	.byte	0                               ; 0x0
	.size	__hip_cuid_9f3b624862e0a5c1, 1

	.ident	"AMD clang version 19.0.0git (https://github.com/RadeonOpenCompute/llvm-project roc-6.4.0 25133 c7fe45cf4b819c5991fe208aaa96edf142730f1d)"
	.section	".note.GNU-stack","",@progbits
	.addrsig
	.addrsig_sym __hip_cuid_9f3b624862e0a5c1
	.amdgpu_metadata
---
amdhsa.kernels:
  - .args:
      - .actual_access:  read_only
        .address_space:  global
        .offset:         0
        .size:           8
        .value_kind:     global_buffer
      - .offset:         8
        .size:           8
        .value_kind:     by_value
      - .actual_access:  read_only
        .address_space:  global
        .offset:         16
        .size:           8
        .value_kind:     global_buffer
      - .actual_access:  read_only
        .address_space:  global
        .offset:         24
        .size:           8
        .value_kind:     global_buffer
      - .offset:         32
        .size:           8
        .value_kind:     by_value
      - .actual_access:  read_only
        .address_space:  global
        .offset:         40
        .size:           8
        .value_kind:     global_buffer
      - .actual_access:  read_only
        .address_space:  global
        .offset:         48
        .size:           8
        .value_kind:     global_buffer
      - .offset:         56
        .size:           4
        .value_kind:     by_value
      - .actual_access:  read_only
        .address_space:  global
        .offset:         64
        .size:           8
        .value_kind:     global_buffer
      - .actual_access:  read_only
        .address_space:  global
        .offset:         72
        .size:           8
        .value_kind:     global_buffer
      - .address_space:  global
        .offset:         80
        .size:           8
        .value_kind:     global_buffer
    .group_segment_fixed_size: 0
    .kernarg_segment_align: 8
    .kernarg_segment_size: 88
    .language:       OpenCL C
    .language_version:
      - 2
      - 0
    .max_flat_workgroup_size: 135
    .name:           fft_rtc_back_len4050_factors_10_5_3_3_3_3_wgs_135_tpt_135_halfLds_dp_ip_CI_unitstride_sbrr_dirReg
    .private_segment_fixed_size: 0
    .sgpr_count:     26
    .sgpr_spill_count: 0
    .symbol:         fft_rtc_back_len4050_factors_10_5_3_3_3_3_wgs_135_tpt_135_halfLds_dp_ip_CI_unitstride_sbrr_dirReg.kd
    .uniform_work_group_size: 1
    .uses_dynamic_stack: false
    .vgpr_count:     227
    .vgpr_spill_count: 0
    .wavefront_size: 64
amdhsa.target:   amdgcn-amd-amdhsa--gfx906
amdhsa.version:
  - 1
  - 2
...

	.end_amdgpu_metadata
